;; amdgpu-corpus repo=ROCm/rocFFT kind=compiled arch=gfx906 opt=O3
	.text
	.amdgcn_target "amdgcn-amd-amdhsa--gfx906"
	.amdhsa_code_object_version 6
	.protected	fft_rtc_fwd_len1836_factors_17_3_3_2_6_wgs_153_tpt_153_halfLds_half_op_CI_CI_unitstride_sbrr_C2R_dirReg ; -- Begin function fft_rtc_fwd_len1836_factors_17_3_3_2_6_wgs_153_tpt_153_halfLds_half_op_CI_CI_unitstride_sbrr_C2R_dirReg
	.globl	fft_rtc_fwd_len1836_factors_17_3_3_2_6_wgs_153_tpt_153_halfLds_half_op_CI_CI_unitstride_sbrr_C2R_dirReg
	.p2align	8
	.type	fft_rtc_fwd_len1836_factors_17_3_3_2_6_wgs_153_tpt_153_halfLds_half_op_CI_CI_unitstride_sbrr_C2R_dirReg,@function
fft_rtc_fwd_len1836_factors_17_3_3_2_6_wgs_153_tpt_153_halfLds_half_op_CI_CI_unitstride_sbrr_C2R_dirReg: ; @fft_rtc_fwd_len1836_factors_17_3_3_2_6_wgs_153_tpt_153_halfLds_half_op_CI_CI_unitstride_sbrr_C2R_dirReg
; %bb.0:
	s_load_dwordx4 s[8:11], s[4:5], 0x58
	s_load_dwordx4 s[12:15], s[4:5], 0x0
	;; [unrolled: 1-line block ×3, first 2 shown]
	v_mul_u32_u24_e32 v1, 0x1ad, v0
	v_mov_b32_e32 v8, 0
	v_mov_b32_e32 v6, 0
	s_waitcnt lgkmcnt(0)
	v_cmp_lt_u64_e64 s[0:1], s[14:15], 2
	v_add_u32_sdwa v10, s6, v1 dst_sel:DWORD dst_unused:UNUSED_PAD src0_sel:DWORD src1_sel:WORD_1
	v_mov_b32_e32 v11, v8
	s_and_b64 vcc, exec, s[0:1]
	v_mov_b32_e32 v7, 0
	s_cbranch_vccnz .LBB0_8
; %bb.1:
	s_load_dwordx2 s[0:1], s[4:5], 0x10
	s_add_u32 s2, s18, 8
	s_addc_u32 s3, s19, 0
	s_add_u32 s6, s16, 8
	s_addc_u32 s7, s17, 0
	v_mov_b32_e32 v6, 0
	s_waitcnt lgkmcnt(0)
	s_add_u32 s20, s0, 8
	v_mov_b32_e32 v7, 0
	v_mov_b32_e32 v1, v6
	s_addc_u32 s21, s1, 0
	s_mov_b64 s[22:23], 1
	v_mov_b32_e32 v2, v7
.LBB0_2:                                ; =>This Inner Loop Header: Depth=1
	s_load_dwordx2 s[24:25], s[20:21], 0x0
                                        ; implicit-def: $vgpr3_vgpr4
	s_waitcnt lgkmcnt(0)
	v_or_b32_e32 v9, s25, v11
	v_cmp_ne_u64_e32 vcc, 0, v[8:9]
	s_and_saveexec_b64 s[0:1], vcc
	s_xor_b64 s[26:27], exec, s[0:1]
	s_cbranch_execz .LBB0_4
; %bb.3:                                ;   in Loop: Header=BB0_2 Depth=1
	v_cvt_f32_u32_e32 v3, s24
	v_cvt_f32_u32_e32 v4, s25
	s_sub_u32 s0, 0, s24
	s_subb_u32 s1, 0, s25
	v_mac_f32_e32 v3, 0x4f800000, v4
	v_rcp_f32_e32 v3, v3
	v_mul_f32_e32 v3, 0x5f7ffffc, v3
	v_mul_f32_e32 v4, 0x2f800000, v3
	v_trunc_f32_e32 v4, v4
	v_mac_f32_e32 v3, 0xcf800000, v4
	v_cvt_u32_f32_e32 v4, v4
	v_cvt_u32_f32_e32 v3, v3
	v_mul_lo_u32 v5, s0, v4
	v_mul_hi_u32 v9, s0, v3
	v_mul_lo_u32 v13, s1, v3
	v_mul_lo_u32 v12, s0, v3
	v_add_u32_e32 v5, v9, v5
	v_add_u32_e32 v5, v5, v13
	v_mul_hi_u32 v9, v3, v12
	v_mul_lo_u32 v13, v3, v5
	v_mul_hi_u32 v15, v3, v5
	v_mul_hi_u32 v14, v4, v12
	v_mul_lo_u32 v12, v4, v12
	v_mul_hi_u32 v16, v4, v5
	v_add_co_u32_e32 v9, vcc, v9, v13
	v_addc_co_u32_e32 v13, vcc, 0, v15, vcc
	v_mul_lo_u32 v5, v4, v5
	v_add_co_u32_e32 v9, vcc, v9, v12
	v_addc_co_u32_e32 v9, vcc, v13, v14, vcc
	v_addc_co_u32_e32 v12, vcc, 0, v16, vcc
	v_add_co_u32_e32 v5, vcc, v9, v5
	v_addc_co_u32_e32 v9, vcc, 0, v12, vcc
	v_add_co_u32_e32 v3, vcc, v3, v5
	v_addc_co_u32_e32 v4, vcc, v4, v9, vcc
	v_mul_lo_u32 v5, s0, v4
	v_mul_hi_u32 v9, s0, v3
	v_mul_lo_u32 v12, s1, v3
	v_mul_lo_u32 v13, s0, v3
	v_add_u32_e32 v5, v9, v5
	v_add_u32_e32 v5, v5, v12
	v_mul_lo_u32 v14, v3, v5
	v_mul_hi_u32 v15, v3, v13
	v_mul_hi_u32 v16, v3, v5
	v_mul_hi_u32 v12, v4, v13
	v_mul_lo_u32 v13, v4, v13
	v_mul_hi_u32 v9, v4, v5
	v_add_co_u32_e32 v14, vcc, v15, v14
	v_addc_co_u32_e32 v15, vcc, 0, v16, vcc
	v_mul_lo_u32 v5, v4, v5
	v_add_co_u32_e32 v13, vcc, v14, v13
	v_addc_co_u32_e32 v12, vcc, v15, v12, vcc
	v_addc_co_u32_e32 v9, vcc, 0, v9, vcc
	v_add_co_u32_e32 v5, vcc, v12, v5
	v_addc_co_u32_e32 v9, vcc, 0, v9, vcc
	v_add_co_u32_e32 v5, vcc, v3, v5
	v_addc_co_u32_e32 v9, vcc, v4, v9, vcc
	v_mad_u64_u32 v[3:4], s[0:1], v10, v9, 0
	v_mul_hi_u32 v12, v10, v5
	v_add_co_u32_e32 v14, vcc, v12, v3
	v_addc_co_u32_e32 v15, vcc, 0, v4, vcc
	v_mad_u64_u32 v[3:4], s[0:1], v11, v5, 0
	v_mad_u64_u32 v[12:13], s[0:1], v11, v9, 0
	v_add_co_u32_e32 v3, vcc, v14, v3
	v_addc_co_u32_e32 v3, vcc, v15, v4, vcc
	v_addc_co_u32_e32 v4, vcc, 0, v13, vcc
	v_add_co_u32_e32 v5, vcc, v3, v12
	v_addc_co_u32_e32 v9, vcc, 0, v4, vcc
	v_mul_lo_u32 v12, s25, v5
	v_mul_lo_u32 v13, s24, v9
	v_mad_u64_u32 v[3:4], s[0:1], s24, v5, 0
	v_add3_u32 v4, v4, v13, v12
	v_sub_u32_e32 v12, v11, v4
	v_mov_b32_e32 v13, s25
	v_sub_co_u32_e32 v3, vcc, v10, v3
	v_subb_co_u32_e64 v12, s[0:1], v12, v13, vcc
	v_subrev_co_u32_e64 v13, s[0:1], s24, v3
	v_subbrev_co_u32_e64 v12, s[0:1], 0, v12, s[0:1]
	v_cmp_le_u32_e64 s[0:1], s25, v12
	v_cndmask_b32_e64 v14, 0, -1, s[0:1]
	v_cmp_le_u32_e64 s[0:1], s24, v13
	v_cndmask_b32_e64 v13, 0, -1, s[0:1]
	v_cmp_eq_u32_e64 s[0:1], s25, v12
	v_cndmask_b32_e64 v12, v14, v13, s[0:1]
	v_add_co_u32_e64 v13, s[0:1], 2, v5
	v_addc_co_u32_e64 v14, s[0:1], 0, v9, s[0:1]
	v_add_co_u32_e64 v15, s[0:1], 1, v5
	v_addc_co_u32_e64 v16, s[0:1], 0, v9, s[0:1]
	v_subb_co_u32_e32 v4, vcc, v11, v4, vcc
	v_cmp_ne_u32_e64 s[0:1], 0, v12
	v_cmp_le_u32_e32 vcc, s25, v4
	v_cndmask_b32_e64 v12, v16, v14, s[0:1]
	v_cndmask_b32_e64 v14, 0, -1, vcc
	v_cmp_le_u32_e32 vcc, s24, v3
	v_cndmask_b32_e64 v3, 0, -1, vcc
	v_cmp_eq_u32_e32 vcc, s25, v4
	v_cndmask_b32_e32 v3, v14, v3, vcc
	v_cmp_ne_u32_e32 vcc, 0, v3
	v_cndmask_b32_e64 v3, v15, v13, s[0:1]
	v_cndmask_b32_e32 v4, v9, v12, vcc
	v_cndmask_b32_e32 v3, v5, v3, vcc
.LBB0_4:                                ;   in Loop: Header=BB0_2 Depth=1
	s_andn2_saveexec_b64 s[0:1], s[26:27]
	s_cbranch_execz .LBB0_6
; %bb.5:                                ;   in Loop: Header=BB0_2 Depth=1
	v_cvt_f32_u32_e32 v3, s24
	s_sub_i32 s26, 0, s24
	v_rcp_iflag_f32_e32 v3, v3
	v_mul_f32_e32 v3, 0x4f7ffffe, v3
	v_cvt_u32_f32_e32 v3, v3
	v_mul_lo_u32 v4, s26, v3
	v_mul_hi_u32 v4, v3, v4
	v_add_u32_e32 v3, v3, v4
	v_mul_hi_u32 v3, v10, v3
	v_mul_lo_u32 v4, v3, s24
	v_add_u32_e32 v5, 1, v3
	v_sub_u32_e32 v4, v10, v4
	v_subrev_u32_e32 v9, s24, v4
	v_cmp_le_u32_e32 vcc, s24, v4
	v_cndmask_b32_e32 v4, v4, v9, vcc
	v_cndmask_b32_e32 v3, v3, v5, vcc
	v_add_u32_e32 v5, 1, v3
	v_cmp_le_u32_e32 vcc, s24, v4
	v_cndmask_b32_e32 v3, v3, v5, vcc
	v_mov_b32_e32 v4, v8
.LBB0_6:                                ;   in Loop: Header=BB0_2 Depth=1
	s_or_b64 exec, exec, s[0:1]
	v_mul_lo_u32 v5, v4, s24
	v_mul_lo_u32 v9, v3, s25
	v_mad_u64_u32 v[12:13], s[0:1], v3, s24, 0
	s_load_dwordx2 s[0:1], s[6:7], 0x0
	s_load_dwordx2 s[24:25], s[2:3], 0x0
	v_add3_u32 v5, v13, v9, v5
	v_sub_co_u32_e32 v9, vcc, v10, v12
	v_subb_co_u32_e32 v5, vcc, v11, v5, vcc
	s_waitcnt lgkmcnt(0)
	v_mul_lo_u32 v10, s0, v5
	v_mul_lo_u32 v11, s1, v9
	v_mad_u64_u32 v[6:7], s[0:1], s0, v9, v[6:7]
	s_add_u32 s22, s22, 1
	s_addc_u32 s23, s23, 0
	s_add_u32 s2, s2, 8
	v_mul_lo_u32 v5, s24, v5
	v_mul_lo_u32 v12, s25, v9
	v_mad_u64_u32 v[1:2], s[0:1], s24, v9, v[1:2]
	v_add3_u32 v7, v11, v7, v10
	s_addc_u32 s3, s3, 0
	v_mov_b32_e32 v9, s14
	s_add_u32 s6, s6, 8
	v_mov_b32_e32 v10, s15
	s_addc_u32 s7, s7, 0
	v_cmp_ge_u64_e32 vcc, s[22:23], v[9:10]
	s_add_u32 s20, s20, 8
	v_add3_u32 v2, v12, v2, v5
	s_addc_u32 s21, s21, 0
	s_cbranch_vccnz .LBB0_9
; %bb.7:                                ;   in Loop: Header=BB0_2 Depth=1
	v_mov_b32_e32 v11, v4
	v_mov_b32_e32 v10, v3
	s_branch .LBB0_2
.LBB0_8:
	v_mov_b32_e32 v1, v6
	v_mov_b32_e32 v3, v10
	;; [unrolled: 1-line block ×4, first 2 shown]
.LBB0_9:
	s_load_dwordx2 s[4:5], s[4:5], 0x28
	s_lshl_b64 s[6:7], s[14:15], 3
	s_add_u32 s2, s18, s6
	s_addc_u32 s3, s19, s7
                                        ; implicit-def: $vgpr5
                                        ; implicit-def: $vgpr8_vgpr9
	s_waitcnt lgkmcnt(0)
	v_cmp_gt_u64_e64 s[0:1], s[4:5], v[3:4]
	v_cmp_le_u64_e32 vcc, s[4:5], v[3:4]
	s_and_saveexec_b64 s[4:5], vcc
	s_xor_b64 s[4:5], exec, s[4:5]
; %bb.10:
	s_mov_b32 s14, 0x1ac5702
	v_mul_hi_u32 v5, v0, s14
	v_mov_b32_e32 v6, 0
	v_mul_u32_u24_e32 v5, 0x99, v5
	v_sub_u32_e32 v5, v0, v5
	v_mov_b32_e32 v9, v6
	v_mov_b32_e32 v8, v5
                                        ; implicit-def: $vgpr0
                                        ; implicit-def: $vgpr6_vgpr7
; %bb.11:
	s_or_saveexec_b64 s[4:5], s[4:5]
	s_load_dwordx2 s[2:3], s[2:3], 0x0
	s_xor_b64 exec, exec, s[4:5]
	s_cbranch_execz .LBB0_15
; %bb.12:
	s_add_u32 s6, s16, s6
	s_addc_u32 s7, s17, s7
	s_load_dwordx2 s[6:7], s[6:7], 0x0
	s_mov_b32 s14, 0x1ac5702
	v_mul_hi_u32 v5, v0, s14
	s_waitcnt lgkmcnt(0)
	v_mul_lo_u32 v10, s7, v3
	v_mul_lo_u32 v11, s6, v4
	v_mad_u64_u32 v[8:9], s[6:7], s6, v3, 0
	v_mul_u32_u24_e32 v5, 0x99, v5
	v_sub_u32_e32 v5, v0, v5
	v_add3_u32 v9, v9, v11, v10
	v_lshlrev_b64 v[8:9], 2, v[8:9]
	v_mov_b32_e32 v0, s9
	v_add_co_u32_e32 v10, vcc, s8, v8
	v_lshlrev_b64 v[7:8], 2, v[6:7]
	v_addc_co_u32_e32 v0, vcc, v0, v9, vcc
	v_add_co_u32_e32 v7, vcc, v10, v7
	v_addc_co_u32_e32 v0, vcc, v0, v8, vcc
	v_lshlrev_b32_e32 v12, 2, v5
	v_add_co_u32_e32 v8, vcc, v7, v12
	v_addc_co_u32_e32 v9, vcc, 0, v0, vcc
	s_movk_i32 s6, 0x1000
	v_add_co_u32_e32 v10, vcc, s6, v8
	v_addc_co_u32_e32 v11, vcc, 0, v9, vcc
	global_load_dword v13, v[8:9], off
	global_load_dword v14, v[8:9], off offset:612
	global_load_dword v15, v[8:9], off offset:1224
	global_load_dword v16, v[8:9], off offset:1836
	global_load_dword v17, v[8:9], off offset:2448
	global_load_dword v18, v[8:9], off offset:3060
	global_load_dword v19, v[8:9], off offset:3672
	global_load_dword v20, v[10:11], off offset:188
	global_load_dword v21, v[10:11], off offset:800
	global_load_dword v22, v[10:11], off offset:1412
	global_load_dword v23, v[10:11], off offset:2024
	global_load_dword v24, v[10:11], off offset:2636
	v_add_u32_e32 v8, 0, v12
	v_mov_b32_e32 v6, 0
	v_add_u32_e32 v9, 0x400, v8
	s_movk_i32 s6, 0x98
	v_add_u32_e32 v10, 0x800, v8
	v_add_u32_e32 v11, 0xe00, v8
	;; [unrolled: 1-line block ×4, first 2 shown]
	v_cmp_eq_u32_e32 vcc, s6, v5
	s_waitcnt vmcnt(8)
	ds_write2_b32 v9, v15, v16 offset0:50 offset1:203
	ds_write2_b32 v8, v13, v14 offset1:153
	s_waitcnt vmcnt(6)
	ds_write2_b32 v10, v17, v18 offset0:100 offset1:253
	s_waitcnt vmcnt(4)
	ds_write2_b32 v11, v19, v20 offset0:22 offset1:175
	;; [unrolled: 2-line block ×4, first 2 shown]
	v_mov_b32_e32 v9, v6
	v_mov_b32_e32 v8, v5
	s_and_saveexec_b64 s[6:7], vcc
	s_cbranch_execz .LBB0_14
; %bb.13:
	v_add_co_u32_e32 v7, vcc, 0x1000, v7
	v_addc_co_u32_e32 v8, vcc, 0, v0, vcc
	global_load_dword v0, v[7:8], off offset:3248
	v_mov_b32_e32 v8, 0x98
	v_mov_b32_e32 v9, 0
	;; [unrolled: 1-line block ×3, first 2 shown]
	s_waitcnt vmcnt(0)
	ds_write_b32 v6, v0 offset:7344
.LBB0_14:
	s_or_b64 exec, exec, s[6:7]
.LBB0_15:
	s_or_b64 exec, exec, s[4:5]
	v_lshlrev_b32_e32 v6, 2, v5
	v_add_u32_e32 v0, 0, v6
	s_waitcnt lgkmcnt(0)
	s_barrier
	v_sub_u32_e32 v10, 0, v6
	ds_read_u16 v6, v0
	ds_read_u16 v12, v10 offset:7344
	s_add_u32 s6, s12, 0x1c6c
	v_lshlrev_b64 v[7:8], 2, v[8:9]
	s_addc_u32 s7, s13, 0
	v_cmp_ne_u32_e32 vcc, 0, v5
	s_waitcnt lgkmcnt(0)
	v_add_f16_e32 v11, v12, v6
	v_sub_f16_e32 v9, v6, v12
	s_and_saveexec_b64 s[4:5], vcc
	s_xor_b64 s[4:5], exec, s[4:5]
	s_cbranch_execz .LBB0_17
; %bb.16:
	v_mov_b32_e32 v9, s7
	v_add_co_u32_e32 v13, vcc, s6, v7
	v_addc_co_u32_e32 v14, vcc, v9, v8, vcc
	global_load_dword v13, v[13:14], off
	ds_read_u16 v9, v10 offset:7346
	ds_read_u16 v11, v0 offset:2
	v_add_f16_e32 v14, v12, v6
	v_sub_f16_e32 v6, v6, v12
	s_waitcnt lgkmcnt(0)
	v_add_f16_e32 v12, v9, v11
	v_sub_f16_e32 v9, v11, v9
	s_waitcnt vmcnt(0)
	v_lshrrev_b32_e32 v11, 16, v13
	v_fma_f16 v15, v6, v11, v14
	v_fma_f16 v16, v12, v11, v9
	v_fma_f16 v14, -v6, v11, v14
	v_fma_f16 v17, v12, v11, -v9
	v_fma_f16 v11, -v13, v12, v15
	v_fma_f16 v9, v6, v13, v16
	v_fma_f16 v12, v13, v12, v14
	;; [unrolled: 1-line block ×3, first 2 shown]
	v_pack_b32_f16 v6, v12, v6
	ds_write_b32 v10, v6 offset:7344
.LBB0_17:
	s_andn2_saveexec_b64 s[4:5], s[4:5]
	s_cbranch_execz .LBB0_19
; %bb.18:
	v_mov_b32_e32 v6, 0
	ds_read_b32 v12, v6 offset:3672
	s_mov_b32 s8, 0xc0004000
	s_waitcnt lgkmcnt(0)
	v_pk_mul_f16 v12, v12, s8
	ds_write_b32 v6, v12 offset:3672
.LBB0_19:
	s_or_b64 exec, exec, s[4:5]
	v_mov_b32_e32 v6, 0
	v_lshlrev_b64 v[12:13], 2, v[5:6]
	v_mov_b32_e32 v6, s7
	v_add_co_u32_e32 v12, vcc, s6, v12
	v_addc_co_u32_e32 v13, vcc, v6, v13, vcc
	global_load_dword v6, v[12:13], off offset:612
	global_load_dword v14, v[12:13], off offset:1224
	;; [unrolled: 1-line block ×4, first 2 shown]
	s_mov_b32 s4, 0x5040100
	v_perm_b32 v9, v9, v11, s4
	ds_write_b32 v0, v9
	ds_read_b32 v9, v0 offset:612
	ds_read_b32 v11, v10 offset:6732
	global_load_dword v12, v[12:13], off offset:3060
	v_add_u32_e32 v23, 0x1600, v0
	s_movk_i32 s4, 0x6c
	v_cmp_gt_u32_e32 vcc, s4, v5
	s_waitcnt lgkmcnt(0)
	v_add_f16_e32 v13, v9, v11
	v_add_f16_sdwa v17, v11, v9 dst_sel:DWORD dst_unused:UNUSED_PAD src0_sel:WORD_1 src1_sel:WORD_1
	v_sub_f16_e32 v18, v9, v11
	v_sub_f16_sdwa v9, v9, v11 dst_sel:DWORD dst_unused:UNUSED_PAD src0_sel:WORD_1 src1_sel:WORD_1
	s_waitcnt vmcnt(4)
	v_lshrrev_b32_e32 v11, 16, v6
	v_fma_f16 v19, v18, v11, v13
	v_fma_f16 v20, v17, v11, v9
	v_fma_f16 v13, -v18, v11, v13
	v_fma_f16 v9, v17, v11, -v9
	v_fma_f16 v11, -v6, v17, v19
	v_fma_f16 v19, v18, v6, v20
	v_fma_f16 v13, v6, v17, v13
	;; [unrolled: 1-line block ×3, first 2 shown]
	v_pack_b32_f16 v9, v11, v19
	v_pack_b32_f16 v6, v13, v6
	ds_write_b32 v0, v9 offset:612
	ds_write_b32 v10, v6 offset:6732
	ds_read_b32 v6, v0 offset:1224
	ds_read_b32 v9, v10 offset:6120
	s_waitcnt vmcnt(3)
	v_lshrrev_b32_e32 v11, 16, v14
	s_waitcnt lgkmcnt(0)
	v_add_f16_e32 v13, v6, v9
	v_add_f16_sdwa v17, v9, v6 dst_sel:DWORD dst_unused:UNUSED_PAD src0_sel:WORD_1 src1_sel:WORD_1
	v_sub_f16_e32 v18, v6, v9
	v_sub_f16_sdwa v6, v6, v9 dst_sel:DWORD dst_unused:UNUSED_PAD src0_sel:WORD_1 src1_sel:WORD_1
	v_fma_f16 v9, v18, v11, v13
	v_fma_f16 v19, v17, v11, v6
	v_fma_f16 v13, -v18, v11, v13
	v_fma_f16 v6, v17, v11, -v6
	v_fma_f16 v9, -v14, v17, v9
	v_fma_f16 v11, v18, v14, v19
	v_fma_f16 v13, v14, v17, v13
	;; [unrolled: 1-line block ×3, first 2 shown]
	v_pack_b32_f16 v9, v9, v11
	v_pack_b32_f16 v6, v13, v6
	ds_write_b32 v0, v9 offset:1224
	ds_write_b32 v10, v6 offset:6120
	ds_read_b32 v6, v0 offset:1836
	ds_read_b32 v9, v10 offset:5508
	s_waitcnt vmcnt(2)
	v_lshrrev_b32_e32 v11, 16, v15
	s_waitcnt lgkmcnt(0)
	v_add_f16_e32 v13, v6, v9
	v_add_f16_sdwa v14, v9, v6 dst_sel:DWORD dst_unused:UNUSED_PAD src0_sel:WORD_1 src1_sel:WORD_1
	v_sub_f16_e32 v17, v6, v9
	v_sub_f16_sdwa v6, v6, v9 dst_sel:DWORD dst_unused:UNUSED_PAD src0_sel:WORD_1 src1_sel:WORD_1
	v_fma_f16 v9, v17, v11, v13
	v_fma_f16 v18, v14, v11, v6
	v_fma_f16 v13, -v17, v11, v13
	v_fma_f16 v6, v14, v11, -v6
	v_fma_f16 v9, -v15, v14, v9
	v_fma_f16 v11, v17, v15, v18
	v_fma_f16 v13, v15, v14, v13
	;; [unrolled: 1-line block ×3, first 2 shown]
	v_pack_b32_f16 v9, v9, v11
	v_pack_b32_f16 v6, v13, v6
	ds_write_b32 v0, v9 offset:1836
	ds_write_b32 v10, v6 offset:5508
	ds_read_b32 v9, v0 offset:2448
	ds_read_b32 v11, v10 offset:4896
	s_waitcnt vmcnt(1)
	v_lshrrev_b32_e32 v15, 16, v16
	v_add_u32_e32 v13, 0x200, v0
	v_add_u32_e32 v14, 0x600, v0
	;; [unrolled: 1-line block ×3, first 2 shown]
	s_waitcnt lgkmcnt(0)
	v_add_f16_e32 v17, v9, v11
	v_add_f16_sdwa v18, v11, v9 dst_sel:DWORD dst_unused:UNUSED_PAD src0_sel:WORD_1 src1_sel:WORD_1
	v_sub_f16_e32 v19, v9, v11
	v_sub_f16_sdwa v9, v9, v11 dst_sel:DWORD dst_unused:UNUSED_PAD src0_sel:WORD_1 src1_sel:WORD_1
	v_fma_f16 v11, v19, v15, v17
	v_fma_f16 v20, v18, v15, v9
	v_fma_f16 v17, -v19, v15, v17
	v_fma_f16 v9, v18, v15, -v9
	v_fma_f16 v11, -v16, v18, v11
	v_fma_f16 v15, v19, v16, v20
	v_fma_f16 v17, v16, v18, v17
	;; [unrolled: 1-line block ×3, first 2 shown]
	v_pack_b32_f16 v11, v11, v15
	v_pack_b32_f16 v9, v17, v9
	ds_write_b32 v0, v11 offset:2448
	ds_write_b32 v10, v9 offset:4896
	ds_read_b32 v9, v0 offset:3060
	ds_read_b32 v11, v10 offset:4284
	s_waitcnt vmcnt(0)
	v_lshrrev_b32_e32 v17, 16, v12
	v_add_u32_e32 v15, 0xc00, v0
	v_add_u32_e32 v16, 0x1000, v0
	;; [unrolled: 1-line block ×3, first 2 shown]
	s_waitcnt lgkmcnt(0)
	v_add_f16_e32 v18, v9, v11
	v_add_f16_sdwa v20, v11, v9 dst_sel:DWORD dst_unused:UNUSED_PAD src0_sel:WORD_1 src1_sel:WORD_1
	v_sub_f16_e32 v21, v9, v11
	v_sub_f16_sdwa v9, v9, v11 dst_sel:DWORD dst_unused:UNUSED_PAD src0_sel:WORD_1 src1_sel:WORD_1
	v_fma_f16 v11, v21, v17, v18
	v_fma_f16 v22, v20, v17, v9
	v_fma_f16 v18, -v21, v17, v18
	v_fma_f16 v9, v20, v17, -v9
	v_fma_f16 v11, -v12, v20, v11
	v_fma_f16 v17, v21, v12, v22
	v_fma_f16 v18, v12, v20, v18
	;; [unrolled: 1-line block ×3, first 2 shown]
	v_pack_b32_f16 v11, v11, v17
	v_pack_b32_f16 v9, v18, v9
	ds_write_b32 v0, v11 offset:3060
	ds_write_b32 v10, v9 offset:4284
	s_waitcnt lgkmcnt(0)
	s_barrier
	s_barrier
	ds_read2_b32 v[9:10], v0 offset1:108
	ds_read2_b32 v[21:22], v13 offset0:88 offset1:196
	ds_read2_b32 v[17:18], v14 offset0:48 offset1:156
	;; [unrolled: 1-line block ×7, first 2 shown]
	ds_read_b32 v26, v0 offset:6912
	s_waitcnt lgkmcnt(0)
	s_barrier
	s_and_saveexec_b64 s[4:5], vcc
	s_cbranch_execz .LBB0_21
; %bb.20:
	v_pk_add_f16 v25, v9, v10
	v_pk_add_f16 v25, v25, v21
	;; [unrolled: 1-line block ×14, first 2 shown]
	v_pk_add_f16 v10, v10, v26 neg_lo:[0,1] neg_hi:[0,1]
	v_pk_add_f16 v25, v25, v23
	v_lshrrev_b32_e32 v29, 16, v27
	s_movk_i32 s7, 0x39e9
	v_mul_f16_e32 v67, 0xb964, v10
	v_pk_add_f16 v28, v25, v24
	v_pk_add_f16 v25, v24, v21
	v_pk_add_f16 v24, v21, v24 neg_lo:[0,1] neg_hi:[0,1]
	v_pk_add_f16 v21, v23, v22
	v_pk_add_f16 v23, v22, v23 neg_lo:[0,1] neg_hi:[0,1]
	;; [unrolled: 2-line block ×7, first 2 shown]
	v_fma_f16 v12, v29, s7, v67
	s_movk_i32 s6, 0x2de8
	v_add_f16_sdwa v31, v9, v12 dst_sel:DWORD dst_unused:UNUSED_PAD src0_sel:WORD_1 src1_sel:DWORD
	v_lshrrev_b32_e32 v12, 16, v25
	v_mul_f16_e32 v30, 0xbbf7, v24
	v_fma_f16 v32, v12, s6, v30
	v_add_f16_e32 v33, v32, v31
	s_mov_b32 s8, 0xb8d2
	v_lshrrev_b32_e32 v31, 16, v21
	v_mul_f16_e32 v32, 0xba62, v23
	v_fma_f16 v34, v31, s8, v32
	v_add_f16_e32 v35, v34, v33
	s_mov_b32 s9, 0xbbdd
	;; [unrolled: 5-line block ×4, first 2 shown]
	v_lshrrev_b32_e32 v37, 16, v18
	v_mul_f16_e32 v38, 0x3bb2, v16
	v_fma_f16 v40, v37, s16, v38
	v_add_f16_e32 v41, v40, v39
	s_movk_i32 s17, 0x3722
	v_lshrrev_b32_e32 v39, 16, v13
	v_mul_f16_e32 v40, 0x3b29, v15
	v_fma_f16 v42, v39, s17, v40
	v_add_f16_e32 v43, v42, v41
	s_movk_i32 s18, 0x3b76
	v_lshrrev_b32_e32 v41, 16, v14
	v_mul_f16_e32 v42, 0x35c8, v11
	v_fma_f16 v44, v41, s18, v42
	s_mov_b32 s19, 0x3b7639e9
	v_add_f16_e32 v64, v44, v43
	s_mov_b32 s15, 0xb964b5c8
	v_pk_mul_f16 v43, v27, s19
	v_pk_fma_f16 v65, v10, s15, v43 op_sel:[0,0,1] op_sel_hi:[1,1,0]
	v_pk_fma_f16 v66, v10, s15, v43 op_sel:[0,0,1] op_sel_hi:[1,1,0] neg_lo:[1,0,0] neg_hi:[1,0,0]
	s_mov_b32 s15, 0xffff
	v_bfi_b32 v43, s15, v65, v66
	s_mov_b32 s20, 0x39e92de8
	v_pk_add_f16 v44, v9, v43 op_sel:[1,0] op_sel_hi:[0,1]
	s_mov_b32 s19, 0xbbf7b964
	v_pk_mul_f16 v43, v25, s20
	v_pk_fma_f16 v45, v24, s19, v43 op_sel:[0,0,1] op_sel_hi:[1,1,0]
	v_pk_fma_f16 v43, v24, s19, v43 op_sel:[0,0,1] op_sel_hi:[1,1,0] neg_lo:[1,0,0] neg_hi:[1,0,0]
	v_bfi_b32 v46, s15, v45, v43
	s_mov_b32 s20, 0x3722b8d2
	v_pk_add_f16 v44, v46, v44
	s_mov_b32 s19, 0xba62bb29
	v_pk_mul_f16 v46, v21, s20
	v_pk_fma_f16 v48, v23, s19, v46 op_sel:[0,0,1] op_sel_hi:[1,1,0]
	v_pk_fma_f16 v46, v23, s19, v46 op_sel:[0,0,1] op_sel_hi:[1,1,0] neg_lo:[1,0,0] neg_hi:[1,0,0]
	v_bfi_b32 v47, s15, v48, v46
	s_mov_b32 s20, 0x2de8bbdd
	v_pk_add_f16 v44, v47, v44
	;; [unrolled: 7-line block ×4, first 2 shown]
	s_mov_b32 s19, 0x3bb2ba62
	v_pk_mul_f16 v47, v18, s20
	v_pk_fma_f16 v54, v16, s19, v47 op_sel:[0,0,1] op_sel_hi:[1,1,0]
	v_pk_fma_f16 v53, v16, s19, v47 op_sel:[0,0,1] op_sel_hi:[1,1,0] neg_lo:[1,0,0] neg_hi:[1,0,0]
	s_mov_b32 s20, 0xbacd3722
	v_bfi_b32 v47, s15, v54, v53
	s_mov_b32 s19, 0x3b29b836
	v_pk_mul_f16 v55, v13, s20
	v_pk_add_f16 v47, v47, v44
	v_pk_fma_f16 v44, v15, s19, v55 op_sel:[0,0,1] op_sel_hi:[1,1,0]
	v_pk_fma_f16 v55, v15, s19, v55 op_sel:[0,0,1] op_sel_hi:[1,1,0] neg_lo:[1,0,0] neg_hi:[1,0,0]
	v_bfi_b32 v56, s15, v44, v55
	s_mov_b32 s20, 0xbbdd3b76
	v_pk_add_f16 v57, v56, v47
	s_mov_b32 s19, 0x35c8b1e1
	v_pk_mul_f16 v47, v14, s20
	v_pk_fma_f16 v58, v11, s19, v47 op_sel:[0,0,1] op_sel_hi:[1,1,0]
	v_pk_fma_f16 v56, v11, s19, v47 op_sel:[0,0,1] op_sel_hi:[1,1,0] neg_lo:[1,0,0] neg_hi:[1,0,0]
	s_mov_b32 s27, 0xb5c8
	v_bfi_b32 v58, s15, v58, v56
	v_mul_f16_sdwa v69, v10, s27 dst_sel:DWORD dst_unused:UNUSED_PAD src0_sel:WORD_1 src1_sel:DWORD
	v_pk_add_f16 v68, v58, v57
	s_mov_b32 s20, 0xb964
	v_fma_f16 v57, v27, s18, -v69
	v_add_f16_e32 v58, v9, v57
	v_mul_f16_sdwa v57, v24, s20 dst_sel:DWORD dst_unused:UNUSED_PAD src0_sel:WORD_1 src1_sel:DWORD
	v_fma_f16 v59, v25, s7, -v57
	s_mov_b32 s21, 0xbb29
	v_add_f16_e32 v59, v59, v58
	v_mul_f16_sdwa v58, v23, s21 dst_sel:DWORD dst_unused:UNUSED_PAD src0_sel:WORD_1 src1_sel:DWORD
	v_fma_f16 v60, v21, s17, -v58
	s_mov_b32 s23, 0xbbf7
	;; [unrolled: 4-line block ×6, first 2 shown]
	v_add_f16_e32 v70, v70, v63
	v_mul_f16_sdwa v63, v11, s26 dst_sel:DWORD dst_unused:UNUSED_PAD src0_sel:WORD_1 src1_sel:DWORD
	v_fma_f16 v71, v14, s9, -v63
	v_add_f16_e32 v70, v71, v70
	v_alignbit_b32 v71, v64, v68, 16
	v_pack_b32_f16 v68, v70, v68
	v_lshl_add_u32 v64, v5, 6, v0
	ds_write2_b32 v64, v68, v71 offset0:1 offset1:2
	v_mul_f16_e32 v68, 0xbbf7, v10
	v_fma_f16 v70, v29, s6, v68
	v_mul_f16_e32 v71, 0xb1e1, v24
	v_add_f16_sdwa v70, v9, v70 dst_sel:DWORD dst_unused:UNUSED_PAD src0_sel:WORD_1 src1_sel:DWORD
	v_fma_f16 v72, v12, s9, v71
	v_add_f16_e32 v70, v72, v70
	v_mul_f16_e32 v72, 0x3bb2, v23
	v_fma_f16 v73, v31, s16, v72
	v_add_f16_e32 v70, v73, v70
	v_mul_f16_e32 v73, 0x35c8, v20
	;; [unrolled: 3-line block ×6, first 2 shown]
	v_fma_f16 v78, v41, s7, v77
	v_add_f16_e32 v70, v78, v70
	v_mul_f16_sdwa v78, v10, s23 dst_sel:DWORD dst_unused:UNUSED_PAD src0_sel:WORD_1 src1_sel:DWORD
	v_fma_f16 v79, v27, s6, -v78
	v_mul_f16_sdwa v80, v24, s26 dst_sel:DWORD dst_unused:UNUSED_PAD src0_sel:WORD_1 src1_sel:DWORD
	v_add_f16_e32 v79, v9, v79
	v_fma_f16 v81, v25, s9, -v80
	s_movk_i32 s28, 0x3bb2
	v_add_f16_e32 v79, v81, v79
	v_mul_f16_sdwa v81, v23, s28 dst_sel:DWORD dst_unused:UNUSED_PAD src0_sel:WORD_1 src1_sel:DWORD
	v_fma_f16 v82, v21, s16, -v81
	s_movk_i32 s29, 0x35c8
	v_add_f16_e32 v79, v82, v79
	v_mul_f16_sdwa v82, v20, s29 dst_sel:DWORD dst_unused:UNUSED_PAD src0_sel:WORD_1 src1_sel:DWORD
	v_fma_f16 v83, v22, s18, -v82
	v_add_f16_e32 v79, v83, v79
	v_mul_f16_sdwa v83, v19, s21 dst_sel:DWORD dst_unused:UNUSED_PAD src0_sel:WORD_1 src1_sel:DWORD
	v_fma_f16 v84, v17, s17, -v83
	;; [unrolled: 3-line block ×3, first 2 shown]
	s_movk_i32 s34, 0x3a62
	v_add_f16_e32 v79, v85, v79
	v_mul_f16_sdwa v85, v15, s34 dst_sel:DWORD dst_unused:UNUSED_PAD src0_sel:WORD_1 src1_sel:DWORD
	v_fma_f16 v86, v13, s8, -v85
	s_movk_i32 s30, 0x3964
	v_add_f16_e32 v79, v86, v79
	v_mul_f16_sdwa v86, v11, s30 dst_sel:DWORD dst_unused:UNUSED_PAD src0_sel:WORD_1 src1_sel:DWORD
	v_fma_f16 v87, v14, s7, -v86
	v_add_f16_e32 v79, v87, v79
	v_mul_f16_e32 v87, 0xbb29, v10
	v_fma_f16 v88, v29, s17, v87
	v_mul_f16_e32 v89, 0xba62, v24
	v_add_f16_sdwa v88, v9, v88 dst_sel:DWORD dst_unused:UNUSED_PAD src0_sel:WORD_1 src1_sel:DWORD
	v_fma_f16 v90, v12, s8, v89
	v_add_f16_e32 v88, v90, v88
	v_mul_f16_e32 v90, 0x31e1, v23
	v_fma_f16 v91, v31, s9, v90
	v_add_f16_e32 v88, v91, v88
	v_mul_f16_e32 v91, 0x3bb2, v20
	;; [unrolled: 3-line block ×6, first 2 shown]
	v_fma_f16 v96, v11, s25, v95
	v_add_f16_e32 v88, v96, v88
	v_mul_f16_sdwa v96, v10, s21 dst_sel:DWORD dst_unused:UNUSED_PAD src0_sel:WORD_1 src1_sel:DWORD
	v_fma_f16 v97, v27, s17, -v96
	v_mul_f16_sdwa v98, v24, s22 dst_sel:DWORD dst_unused:UNUSED_PAD src0_sel:WORD_1 src1_sel:DWORD
	v_add_f16_e32 v97, v9, v97
	v_fma_f16 v99, v25, s8, -v98
	s_movk_i32 s31, 0x31e1
	v_add_f16_e32 v97, v99, v97
	v_mul_f16_sdwa v99, v23, s31 dst_sel:DWORD dst_unused:UNUSED_PAD src0_sel:WORD_1 src1_sel:DWORD
	v_fma_f16 v100, v21, s9, -v99
	v_add_f16_e32 v97, v100, v97
	v_mul_f16_sdwa v100, v20, s28 dst_sel:DWORD dst_unused:UNUSED_PAD src0_sel:WORD_1 src1_sel:DWORD
	v_fma_f16 v101, v22, s16, -v100
	;; [unrolled: 3-line block ×6, first 2 shown]
	v_add_f16_e32 v97, v105, v97
	v_pack_b32_f16 v70, v79, v70
	v_pack_b32_f16 v79, v97, v88
	ds_write2_b32 v64, v79, v70 offset0:3 offset1:4
	v_mul_f16_e32 v70, 0xb8d2, v29
	v_fma_f16 v79, v10, s22, v70
	v_mul_f16_e32 v88, 0xb461, v12
	v_add_f16_sdwa v79, v9, v79 dst_sel:DWORD dst_unused:UNUSED_PAD src0_sel:WORD_1 src1_sel:DWORD
	v_fma_f16 v97, v24, s28, v88
	v_add_f16_e32 v79, v97, v79
	v_mul_f16_e32 v97, 0x3b76, v31
	v_fma_f16 v105, v23, s27, v97
	v_add_f16_e32 v79, v105, v79
	v_mul_f16_e32 v105, 0xbacd, v33
	v_fma_f16 v106, v20, s25, v105
	v_add_f16_e32 v79, v106, v79
	s_movk_i32 s33, 0x3bf7
	v_mul_f16_e32 v106, 0x2de8, v35
	v_fma_f16 v107, v19, s33, v106
	v_add_f16_e32 v79, v107, v79
	v_mul_f16_e32 v107, 0x39e9, v37
	v_fma_f16 v108, v16, s20, v107
	v_add_f16_e32 v79, v108, v79
	;; [unrolled: 3-line block ×3, first 2 shown]
	s_movk_i32 s35, 0x3b29
	v_mul_f16_e32 v109, 0x3722, v41
	v_fma_f16 v110, v11, s35, v109
	v_add_f16_e32 v79, v110, v79
	v_mul_f16_sdwa v110, v10, s22 dst_sel:DWORD dst_unused:UNUSED_PAD src0_sel:WORD_1 src1_sel:DWORD
	v_fma_f16 v111, v27, s8, -v110
	v_mul_f16_sdwa v112, v24, s28 dst_sel:DWORD dst_unused:UNUSED_PAD src0_sel:WORD_1 src1_sel:DWORD
	v_add_f16_e32 v111, v9, v111
	v_fma_f16 v113, v25, s16, -v112
	v_add_f16_e32 v111, v113, v111
	v_mul_f16_sdwa v113, v23, s27 dst_sel:DWORD dst_unused:UNUSED_PAD src0_sel:WORD_1 src1_sel:DWORD
	v_fma_f16 v114, v21, s18, -v113
	v_add_f16_e32 v111, v114, v111
	v_mul_f16_sdwa v114, v20, s25 dst_sel:DWORD dst_unused:UNUSED_PAD src0_sel:WORD_1 src1_sel:DWORD
	;; [unrolled: 3-line block ×6, first 2 shown]
	v_fma_f16 v119, v14, s17, -v118
	v_add_f16_e32 v111, v119, v111
	v_mul_f16_e32 v119, 0xbbb2, v10
	v_fma_f16 v120, v29, s16, v119
	v_mul_f16_e32 v121, 0x3836, v24
	v_add_f16_sdwa v120, v9, v120 dst_sel:DWORD dst_unused:UNUSED_PAD src0_sel:WORD_1 src1_sel:DWORD
	v_fma_f16 v122, v12, s14, v121
	v_add_f16_e32 v120, v122, v120
	v_mul_f16_e32 v122, 0x3964, v23
	v_fma_f16 v123, v31, s7, v122
	v_add_f16_e32 v120, v123, v120
	v_mul_f16_e32 v123, 0xbb29, v20
	;; [unrolled: 3-line block ×6, first 2 shown]
	v_fma_f16 v128, v41, s8, v127
	v_add_f16_e32 v120, v128, v120
	s_movk_i32 s36, 0x3836
	v_mul_f16_sdwa v128, v10, s24 dst_sel:DWORD dst_unused:UNUSED_PAD src0_sel:WORD_1 src1_sel:DWORD
	v_fma_f16 v129, v27, s16, -v128
	v_mul_f16_sdwa v130, v24, s36 dst_sel:DWORD dst_unused:UNUSED_PAD src0_sel:WORD_1 src1_sel:DWORD
	v_add_f16_e32 v129, v9, v129
	v_fma_f16 v131, v25, s14, -v130
	v_add_f16_e32 v129, v131, v129
	v_mul_f16_sdwa v131, v23, s30 dst_sel:DWORD dst_unused:UNUSED_PAD src0_sel:WORD_1 src1_sel:DWORD
	v_fma_f16 v132, v21, s7, -v131
	v_add_f16_e32 v129, v132, v129
	v_mul_f16_sdwa v132, v20, s21 dst_sel:DWORD dst_unused:UNUSED_PAD src0_sel:WORD_1 src1_sel:DWORD
	;; [unrolled: 3-line block ×6, first 2 shown]
	v_fma_f16 v137, v14, s8, -v136
	v_add_f16_e32 v129, v137, v129
	v_pack_b32_f16 v79, v111, v79
	v_pack_b32_f16 v111, v129, v120
	v_pk_add_f16 v26, v28, v26
	v_mul_f16_e32 v28, 0xbacd, v29
	ds_write2_b32 v64, v111, v79 offset0:5 offset1:6
	v_fma_f16 v79, v10, s25, v28
	v_mul_f16_e32 v111, 0x3722, v12
	v_add_f16_sdwa v79, v9, v79 dst_sel:DWORD dst_unused:UNUSED_PAD src0_sel:WORD_1 src1_sel:DWORD
	v_fma_f16 v120, v24, s35, v111
	v_add_f16_e32 v79, v120, v79
	v_mul_f16_e32 v120, 0x2de8, v31
	v_fma_f16 v129, v23, s23, v120
	v_add_f16_e32 v79, v129, v79
	v_mul_f16_e32 v129, 0xb8d2, v33
	;; [unrolled: 3-line block ×6, first 2 shown]
	v_fma_f16 v141, v11, s24, v140
	v_add_f16_e32 v79, v141, v79
	v_mul_f16_sdwa v141, v10, s25 dst_sel:DWORD dst_unused:UNUSED_PAD src0_sel:WORD_1 src1_sel:DWORD
	v_fma_f16 v142, v27, s14, -v141
	v_mul_f16_sdwa v143, v24, s35 dst_sel:DWORD dst_unused:UNUSED_PAD src0_sel:WORD_1 src1_sel:DWORD
	v_add_f16_e32 v142, v9, v142
	v_fma_f16 v144, v25, s17, -v143
	v_add_f16_e32 v142, v144, v142
	v_mul_f16_sdwa v144, v23, s23 dst_sel:DWORD dst_unused:UNUSED_PAD src0_sel:WORD_1 src1_sel:DWORD
	v_fma_f16 v145, v21, s6, -v144
	v_add_f16_e32 v142, v145, v142
	v_mul_f16_sdwa v145, v20, s34 dst_sel:DWORD dst_unused:UNUSED_PAD src0_sel:WORD_1 src1_sel:DWORD
	;; [unrolled: 3-line block ×6, first 2 shown]
	v_fma_f16 v150, v14, s16, -v149
	v_add_f16_e32 v142, v150, v142
	v_pack_b32_f16 v79, v142, v79
	ds_write2_b32 v64, v26, v79 offset1:7
	v_fma_f16 v26, v29, s16, -v119
	v_fma_f16 v68, v29, s6, -v68
	;; [unrolled: 1-line block ×4, first 2 shown]
	v_fma_f16 v67, v10, s34, v70
	v_fma_f16 v70, v27, s8, v110
	v_fma_f16 v87, v27, s14, v141
	v_fma_f16 v110, v27, s16, v128
	v_fma_f16 v78, v27, s6, v78
	v_fma_f16 v96, v27, s17, v96
	v_fma_f16 v69, v27, s18, v69
	v_pk_mul_f16 v27, v27, s9 op_sel_hi:[1,0]
	v_fma_f16 v28, v10, s36, v28
	v_pk_fma_f16 v119, v10, s26, v27 op_sel:[0,0,1] op_sel_hi:[1,0,0] neg_lo:[1,0,0] neg_hi:[1,0,0]
	v_pk_fma_f16 v10, v10, s26, v27 op_sel:[0,0,1] op_sel_hi:[1,0,0]
	v_add_f16_sdwa v27, v9, v67 dst_sel:DWORD dst_unused:UNUSED_PAD src0_sel:WORD_1 src1_sel:DWORD
	v_add_f16_e32 v67, v9, v70
	v_add_f16_sdwa v28, v9, v28 dst_sel:DWORD dst_unused:UNUSED_PAD src0_sel:WORD_1 src1_sel:DWORD
	v_add_f16_e32 v70, v9, v87
	;; [unrolled: 2-line block ×5, first 2 shown]
	v_add_f16_sdwa v29, v9, v29 dst_sel:DWORD dst_unused:UNUSED_PAD src0_sel:WORD_1 src1_sel:DWORD
	v_pk_add_f16 v65, v9, v65 op_sel:[1,0] op_sel_hi:[0,1]
	v_add_f16_sdwa v66, v9, v66 dst_sel:DWORD dst_unused:UNUSED_PAD src0_sel:WORD_1 src1_sel:DWORD
	v_add_f16_e32 v69, v9, v69
	v_pk_add_f16 v110, v9, v119 op_sel:[1,0] op_sel_hi:[0,1]
	v_pk_add_f16 v9, v9, v10 op_sel:[1,0] op_sel_hi:[0,1]
	v_pk_mul_f16 v10, v25, s18 op_sel_hi:[1,0]
	v_pk_fma_f16 v119, v24, s29, v10 op_sel:[0,0,1] op_sel_hi:[1,0,0] neg_lo:[1,0,0] neg_hi:[1,0,0]
	v_pk_add_f16 v110, v119, v110
	v_pk_mul_f16 v119, v21, s14 op_sel_hi:[1,0]
	v_pk_fma_f16 v128, v23, s25, v119 op_sel:[0,0,1] op_sel_hi:[1,0,0] neg_lo:[1,0,0] neg_hi:[1,0,0]
	v_pk_add_f16 v110, v128, v110
	;; [unrolled: 3-line block ×3, first 2 shown]
	v_pk_mul_f16 v141, v17, s8 op_sel_hi:[1,0]
	v_pk_fma_f16 v142, v19, s22, v141 op_sel:[0,0,1] op_sel_hi:[1,0,0] neg_lo:[1,0,0] neg_hi:[1,0,0]
	v_pk_fma_f16 v10, v24, s29, v10 op_sel:[0,0,1] op_sel_hi:[1,0,0]
	v_pk_add_f16 v110, v142, v110
	v_pk_mul_f16 v142, v18, s17 op_sel_hi:[1,0]
	v_pk_add_f16 v9, v10, v9
	v_pk_fma_f16 v10, v23, s25, v119 op_sel:[0,0,1] op_sel_hi:[1,0,0]
	v_pk_fma_f16 v150, v16, s35, v142 op_sel:[0,0,1] op_sel_hi:[1,0,0] neg_lo:[1,0,0] neg_hi:[1,0,0]
	v_pk_add_f16 v9, v10, v9
	v_pk_fma_f16 v10, v20, s30, v128 op_sel:[0,0,1] op_sel_hi:[1,0,0]
	v_pk_add_f16 v110, v150, v110
	v_pk_mul_f16 v150, v13, s16 op_sel_hi:[1,0]
	v_pk_add_f16 v9, v10, v9
	v_pk_fma_f16 v10, v19, s22, v141 op_sel:[0,0,1] op_sel_hi:[1,0,0]
	v_pk_fma_f16 v151, v15, s24, v150 op_sel:[0,0,1] op_sel_hi:[1,0,0] neg_lo:[1,0,0] neg_hi:[1,0,0]
	v_pk_add_f16 v9, v10, v9
	;; [unrolled: 7-line block ×3, first 2 shown]
	v_pk_fma_f16 v10, v11, s33, v151 op_sel:[0,0,1] op_sel_hi:[1,0,0]
	v_pk_add_f16 v110, v152, v110
	v_pk_add_f16 v9, v10, v9
	v_alignbit_b32 v10, v110, v9, 16
	v_alignbit_b32 v9, v9, v110, 16
	ds_write2_b32 v64, v9, v10 offset0:8 offset1:9
	v_fma_f16 v9, v24, s24, v88
	v_fma_f16 v24, v24, s21, v111
	v_add_f16_e32 v9, v9, v27
	v_fma_f16 v10, v23, s29, v97
	v_add_f16_e32 v24, v24, v28
	;; [unrolled: 2-line block ×19, first 2 shown]
	v_fma_f16 v19, v12, s14, -v121
	v_add_f16_e32 v19, v19, v26
	v_fma_f16 v20, v31, s7, -v122
	v_add_f16_e32 v19, v20, v19
	;; [unrolled: 2-line block ×7, first 2 shown]
	v_fma_f16 v20, v25, s14, v130
	v_add_f16_e32 v20, v20, v87
	v_fma_f16 v23, v21, s7, v131
	v_add_f16_e32 v20, v23, v20
	;; [unrolled: 2-line block ×7, first 2 shown]
	v_fma_f16 v23, v12, s9, -v71
	v_add_f16_e32 v23, v23, v68
	v_fma_f16 v24, v31, s16, -v72
	v_add_f16_e32 v23, v24, v23
	;; [unrolled: 2-line block ×7, first 2 shown]
	v_fma_f16 v10, v11, s21, v109
	v_add_f16_e32 v23, v24, v23
	v_fma_f16 v24, v25, s9, v80
	v_add_f16_e32 v9, v10, v9
	;; [unrolled: 2-line block ×15, first 2 shown]
	v_fma_f16 v26, v12, s8, -v89
	v_add_f16_e32 v10, v27, v10
	v_add_f16_e32 v26, v26, v79
	v_fma_f16 v27, v31, s9, -v90
	v_add_f16_e32 v26, v27, v26
	v_fma_f16 v27, v33, s16, -v91
	;; [unrolled: 2-line block ×4, first 2 shown]
	v_add_f16_e32 v26, v27, v26
	v_fma_f16 v27, v25, s8, v98
	v_add_f16_e32 v27, v27, v96
	v_fma_f16 v28, v21, s9, v99
	;; [unrolled: 2-line block ×7, first 2 shown]
	v_fma_f16 v12, v12, s6, -v30
	v_add_f16_e32 v27, v28, v27
	v_add_f16_e32 v12, v12, v29
	v_fma_f16 v28, v31, s8, -v32
	v_add_f16_e32 v12, v28, v12
	v_fma_f16 v28, v33, s9, -v34
	;; [unrolled: 2-line block ×4, first 2 shown]
	v_fma_f16 v25, v25, s7, v57
	v_add_f16_e32 v12, v28, v12
	v_fma_f16 v29, v39, s17, -v40
	v_add_f16_e32 v25, v25, v69
	v_fma_f16 v21, v21, s17, v58
	v_add_f16_e32 v12, v29, v12
	v_fma_f16 v29, v41, s18, -v42
	v_add_f16_e32 v21, v21, v25
	v_fma_f16 v22, v22, s6, v59
	v_add_f16_e32 v12, v29, v12
	v_pk_add_f16 v29, v45, v65
	v_add_f16_e32 v21, v22, v21
	v_fma_f16 v17, v17, s16, v60
	v_pk_add_f16 v29, v48, v29
	v_add_f16_e32 v17, v17, v21
	v_fma_f16 v18, v18, s8, v61
	;; [unrolled: 3-line block ×4, first 2 shown]
	v_pack_b32_f16 v9, v10, v9
	v_pack_b32_f16 v10, v16, v15
	v_pk_add_f16 v29, v54, v29
	v_add_f16_e32 v30, v43, v66
	v_add_f16_e32 v13, v14, v13
	v_mul_f16_e32 v14, 0xb836, v11
	ds_write2_b32 v64, v10, v9 offset0:10 offset1:11
	v_pack_b32_f16 v9, v24, v23
	v_pack_b32_f16 v10, v20, v19
	v_add_f16_e32 v30, v46, v30
	ds_write2_b32 v64, v10, v9 offset0:12 offset1:13
	v_bfi_b32 v9, s15, v14, v29
	v_fma_f16 v28, v39, s6, -v94
	v_add_f16_e32 v30, v49, v30
	v_pk_mul_f16 v11, v11, s19
	v_pk_add_f16 v9, v95, v9 neg_lo:[0,1] neg_hi:[0,1]
	v_pk_add_f16 v10, v44, v29
	v_add_f16_e32 v30, v51, v30
	v_bfi_b32 v9, s15, v9, v10
	v_pack_b32_f16 v10, v28, v47
	v_bfi_b32 v11, s15, v26, v11
	v_add_f16_e32 v30, v53, v30
	v_pk_add_f16 v10, v10, v11
	v_add_f16_e32 v30, v55, v30
	v_pk_add_f16 v9, v9, v10
	v_add_f16_e32 v30, v56, v30
	v_alignbit_b32 v10, v12, v9, 16
	v_pack_b32_f16 v9, v27, v9
	ds_write2_b32 v64, v9, v10 offset0:14 offset1:15
	v_pack_b32_f16 v9, v13, v30
	ds_write_b32 v64, v9 offset:64
.LBB0_21:
	s_or_b64 exec, exec, s[4:5]
	s_movk_i32 s4, 0xf1
	v_add_u32_e32 v34, 0x99, v5
	v_mul_lo_u16_sdwa v9, v5, s4 dst_sel:DWORD dst_unused:UNUSED_PAD src0_sel:BYTE_0 src1_sel:DWORD
	s_mov_b32 s4, 0xf0f1
	v_mul_u32_u24_sdwa v10, v34, s4 dst_sel:DWORD dst_unused:UNUSED_PAD src0_sel:WORD_0 src1_sel:DWORD
	v_lshrrev_b16_e32 v36, 12, v9
	v_lshrrev_b32_e32 v39, 20, v10
	v_add_u32_e32 v35, 0x132, v5
	v_mul_lo_u16_e32 v9, 17, v36
	v_mul_lo_u16_e32 v10, 17, v39
	v_sub_u16_e32 v37, v5, v9
	v_mov_b32_e32 v38, 3
	v_sub_u16_e32 v40, v34, v10
	v_mul_u32_u24_sdwa v11, v35, s4 dst_sel:DWORD dst_unused:UNUSED_PAD src0_sel:WORD_0 src1_sel:DWORD
	v_lshlrev_b32_sdwa v9, v38, v37 dst_sel:DWORD dst_unused:UNUSED_PAD src0_sel:DWORD src1_sel:BYTE_0
	v_lshlrev_b32_e32 v10, 3, v40
	v_lshrrev_b32_e32 v41, 20, v11
	s_waitcnt lgkmcnt(0)
	s_barrier
	global_load_dwordx2 v[14:15], v9, s[12:13]
	global_load_dwordx2 v[16:17], v10, s[12:13]
	v_mul_lo_u16_e32 v9, 17, v41
	v_sub_u16_e32 v42, v35, v9
	v_lshlrev_b32_e32 v9, 3, v42
	global_load_dwordx2 v[18:19], v9, s[12:13]
	v_add_u32_e32 v13, 0x1cb, v5
	v_mul_u32_u24_sdwa v10, v13, s4 dst_sel:DWORD dst_unused:UNUSED_PAD src0_sel:WORD_0 src1_sel:DWORD
	v_lshrrev_b32_e32 v43, 20, v10
	v_mul_lo_u16_e32 v9, 17, v43
	v_sub_u16_e32 v44, v13, v9
	v_lshlrev_b32_e32 v9, 3, v44
	global_load_dwordx2 v[20:21], v9, s[12:13]
	ds_read2_b32 v[22:23], v0 offset1:153
	ds_read2_b32 v[24:25], v6 offset0:100 offset1:253
	v_add_u32_e32 v9, 0x1200, v0
	v_add_u32_e32 v12, 0x400, v0
	ds_read_u16 v45, v0 offset:3674
	v_add_u32_e32 v11, 0xe00, v0
	v_add_u32_e32 v10, 0x1700, v0
	ds_read2_b32 v[26:27], v9 offset0:72 offset1:225
	ds_read2_b32 v[28:29], v12 offset0:50 offset1:203
	;; [unrolled: 1-line block ×4, first 2 shown]
	s_waitcnt lgkmcnt(5)
	v_lshrrev_b32_e32 v48, 16, v24
	s_waitcnt lgkmcnt(3)
	v_lshrrev_b32_e32 v55, 16, v26
	v_lshrrev_b32_e32 v49, 16, v25
	;; [unrolled: 1-line block ×4, first 2 shown]
	s_movk_i32 s5, 0x3aee
	s_mov_b32 s4, 0xbaee
	s_waitcnt lgkmcnt(0)
	v_lshrrev_b32_e32 v51, 16, v32
	v_lshrrev_b32_e32 v47, 16, v23
	;; [unrolled: 1-line block ×6, first 2 shown]
	s_waitcnt vmcnt(0)
	s_barrier
	s_movk_i32 s6, 0xa1
	v_add_co_u32_e32 v7, vcc, s12, v7
	v_mul_f16_sdwa v57, v14, v48 dst_sel:DWORD dst_unused:UNUSED_PAD src0_sel:WORD_1 src1_sel:DWORD
	v_mul_f16_sdwa v59, v15, v55 dst_sel:DWORD dst_unused:UNUSED_PAD src0_sel:WORD_1 src1_sel:DWORD
	;; [unrolled: 1-line block ×4, first 2 shown]
	v_fma_f16 v24, v14, v24, -v57
	v_fma_f16 v26, v15, v26, -v59
	v_mul_f16_sdwa v65, v45, v18 dst_sel:DWORD dst_unused:UNUSED_PAD src0_sel:DWORD src1_sel:WORD_1
	v_mul_f16_sdwa v66, v18, v30 dst_sel:DWORD dst_unused:UNUSED_PAD src0_sel:WORD_1 src1_sel:DWORD
	v_fma_f16 v14, v14, v48, v58
	v_fma_f16 v15, v15, v55, v60
	v_add_f16_e32 v48, v24, v26
	v_mul_f16_sdwa v61, v16, v49 dst_sel:DWORD dst_unused:UNUSED_PAD src0_sel:WORD_1 src1_sel:DWORD
	v_mul_f16_sdwa v62, v16, v25 dst_sel:DWORD dst_unused:UNUSED_PAD src0_sel:WORD_1 src1_sel:DWORD
	;; [unrolled: 1-line block ×3, first 2 shown]
	v_fma_f16 v30, v18, v30, -v65
	v_fma_f16 v18, v45, v18, v66
	v_add_f16_e32 v45, v22, v24
	v_fma_f16 v22, v48, -0.5, v22
	v_sub_f16_e32 v48, v14, v15
	v_mul_f16_sdwa v64, v17, v27 dst_sel:DWORD dst_unused:UNUSED_PAD src0_sel:WORD_1 src1_sel:DWORD
	v_fma_f16 v25, v16, v25, -v61
	v_fma_f16 v16, v16, v49, v62
	v_fma_f16 v27, v17, v27, -v63
	v_fma_f16 v49, v48, s5, v22
	v_fma_f16 v22, v48, s4, v22
	v_add_f16_e32 v48, v46, v14
	v_add_f16_e32 v14, v14, v15
	v_fma_f16 v17, v17, v56, v64
	v_add_f16_e32 v45, v45, v26
	v_add_f16_e32 v48, v48, v15
	v_fma_f16 v14, v14, -0.5, v46
	v_sub_f16_e32 v15, v24, v26
	v_add_f16_e32 v26, v25, v27
	v_mul_f16_sdwa v67, v51, v19 dst_sel:DWORD dst_unused:UNUSED_PAD src0_sel:DWORD src1_sel:WORD_1
	v_fma_f16 v24, v15, s4, v14
	v_fma_f16 v14, v15, s5, v14
	v_add_f16_e32 v15, v23, v25
	v_fma_f16 v23, v26, -0.5, v23
	v_sub_f16_e32 v26, v16, v17
	v_mul_f16_sdwa v68, v32, v19 dst_sel:DWORD dst_unused:UNUSED_PAD src0_sel:DWORD src1_sel:WORD_1
	v_fma_f16 v32, v32, v19, -v67
	v_fma_f16 v46, v26, s5, v23
	v_fma_f16 v23, v26, s4, v23
	v_add_f16_e32 v26, v47, v16
	v_add_f16_e32 v16, v16, v17
	v_fma_f16 v19, v51, v19, v68
	v_add_f16_e32 v15, v15, v27
	v_add_f16_e32 v26, v26, v17
	v_fma_f16 v16, v16, -0.5, v47
	v_sub_f16_e32 v17, v25, v27
	v_add_f16_e32 v27, v30, v32
	v_mul_f16_sdwa v69, v53, v20 dst_sel:DWORD dst_unused:UNUSED_PAD src0_sel:DWORD src1_sel:WORD_1
	v_mul_f16_sdwa v71, v54, v21 dst_sel:DWORD dst_unused:UNUSED_PAD src0_sel:DWORD src1_sel:WORD_1
	v_fma_f16 v25, v17, s4, v16
	v_fma_f16 v16, v17, s5, v16
	v_add_f16_e32 v17, v28, v30
	v_fma_f16 v27, v27, -0.5, v28
	v_sub_f16_e32 v28, v18, v19
	v_mul_f16_sdwa v70, v31, v20 dst_sel:DWORD dst_unused:UNUSED_PAD src0_sel:DWORD src1_sel:WORD_1
	v_mul_f16_sdwa v72, v33, v21 dst_sel:DWORD dst_unused:UNUSED_PAD src0_sel:DWORD src1_sel:WORD_1
	v_fma_f16 v31, v31, v20, -v69
	v_fma_f16 v33, v33, v21, -v71
	v_fma_f16 v47, v28, s5, v27
	v_fma_f16 v27, v28, s4, v27
	v_add_f16_e32 v28, v50, v18
	v_add_f16_e32 v18, v18, v19
	v_fma_f16 v20, v53, v20, v70
	v_fma_f16 v21, v54, v21, v72
	v_add_f16_e32 v17, v17, v32
	v_add_f16_e32 v28, v28, v19
	v_fma_f16 v18, v18, -0.5, v50
	v_sub_f16_e32 v19, v30, v32
	v_add_f16_e32 v32, v31, v33
	v_fma_f16 v30, v19, s4, v18
	v_fma_f16 v18, v19, s5, v18
	v_add_f16_e32 v19, v29, v31
	v_fma_f16 v29, v32, -0.5, v29
	v_sub_f16_e32 v32, v20, v21
	v_fma_f16 v50, v32, s5, v29
	v_fma_f16 v29, v32, s4, v29
	v_add_f16_e32 v32, v52, v20
	v_add_f16_e32 v20, v20, v21
	v_add_f16_e32 v32, v32, v21
	v_fma_f16 v20, v20, -0.5, v52
	v_sub_f16_e32 v21, v31, v33
	v_fma_f16 v31, v21, s4, v20
	v_fma_f16 v20, v21, s5, v20
	v_mul_u32_u24_e32 v21, 0xcc, v36
	v_mov_b32_e32 v36, 2
	v_add_f16_e32 v19, v19, v33
	v_lshlrev_b32_sdwa v33, v36, v37 dst_sel:DWORD dst_unused:UNUSED_PAD src0_sel:DWORD src1_sel:BYTE_0
	v_add3_u32 v21, 0, v21, v33
	v_pack_b32_f16 v33, v45, v48
	v_pack_b32_f16 v24, v49, v24
	;; [unrolled: 1-line block ×3, first 2 shown]
	ds_write2_b32 v21, v33, v24 offset1:17
	ds_write_b32 v21, v14 offset:136
	v_mul_u32_u24_e32 v14, 0xcc, v39
	v_lshlrev_b32_e32 v21, 2, v40
	v_add3_u32 v14, 0, v14, v21
	v_pack_b32_f16 v15, v15, v26
	v_pack_b32_f16 v21, v46, v25
	ds_write2_b32 v14, v15, v21 offset1:17
	v_pack_b32_f16 v15, v23, v16
	ds_write_b32 v14, v15 offset:136
	v_mul_u32_u24_e32 v14, 0xcc, v41
	v_lshlrev_b32_e32 v15, 2, v42
	v_add3_u32 v14, 0, v14, v15
	v_pack_b32_f16 v15, v17, v28
	v_pack_b32_f16 v16, v47, v30
	ds_write2_b32 v14, v15, v16 offset1:17
	v_pack_b32_f16 v15, v27, v18
	;; [unrolled: 8-line block ×3, first 2 shown]
	ds_write_b32 v14, v15 offset:136
	v_mul_lo_u16_sdwa v14, v5, s6 dst_sel:DWORD dst_unused:UNUSED_PAD src0_sel:BYTE_0 src1_sel:DWORD
	v_lshrrev_b16_e32 v37, 13, v14
	v_mul_lo_u16_e32 v14, 51, v37
	v_sub_u16_e32 v39, v5, v14
	v_lshlrev_b32_sdwa v14, v38, v39 dst_sel:DWORD dst_unused:UNUSED_PAD src0_sel:DWORD src1_sel:BYTE_0
	s_waitcnt lgkmcnt(0)
	s_barrier
	global_load_dwordx2 v[14:15], v14, s[12:13] offset:136
	s_mov_b32 s6, 0xa0a1
	v_mul_u32_u24_sdwa v16, v34, s6 dst_sel:DWORD dst_unused:UNUSED_PAD src0_sel:WORD_0 src1_sel:DWORD
	v_lshrrev_b32_e32 v38, 21, v16
	v_mul_lo_u16_e32 v16, 51, v38
	v_sub_u16_e32 v34, v34, v16
	v_lshlrev_b32_e32 v16, 3, v34
	global_load_dwordx2 v[16:17], v16, s[12:13] offset:136
	v_mul_u32_u24_sdwa v18, v35, s6 dst_sel:DWORD dst_unused:UNUSED_PAD src0_sel:WORD_0 src1_sel:DWORD
	v_lshrrev_b32_e32 v40, 21, v18
	v_mul_lo_u16_e32 v18, 51, v40
	v_sub_u16_e32 v41, v35, v18
	v_lshlrev_b32_e32 v18, 3, v41
	global_load_dwordx2 v[18:19], v18, s[12:13] offset:136
	;; [unrolled: 6-line block ×3, first 2 shown]
	ds_read2_b32 v[22:23], v0 offset1:153
	ds_read2_b32 v[24:25], v6 offset0:100 offset1:253
	ds_read2_b32 v[26:27], v12 offset0:50 offset1:203
	;; [unrolled: 1-line block ×5, first 2 shown]
	s_waitcnt lgkmcnt(4)
	v_lshrrev_b32_e32 v51, 16, v24
	s_waitcnt lgkmcnt(3)
	v_lshrrev_b32_e32 v46, 16, v26
	;; [unrolled: 2-line block ×3, first 2 shown]
	v_lshrrev_b32_e32 v50, 16, v29
	s_waitcnt lgkmcnt(0)
	v_lshrrev_b32_e32 v49, 16, v33
	v_lshrrev_b32_e32 v44, 16, v22
	;; [unrolled: 1-line block ×4, first 2 shown]
	s_waitcnt vmcnt(0)
	s_barrier
	s_movk_i32 s6, 0x358b
	v_mul_f16_sdwa v52, v14, v51 dst_sel:DWORD dst_unused:UNUSED_PAD src0_sel:WORD_1 src1_sel:DWORD
	v_fma_f16 v52, v14, v24, -v52
	v_mul_f16_sdwa v24, v14, v24 dst_sel:DWORD dst_unused:UNUSED_PAD src0_sel:WORD_1 src1_sel:DWORD
	v_fma_f16 v14, v14, v51, v24
	v_lshrrev_b32_e32 v24, 16, v30
	v_mul_f16_sdwa v51, v15, v24 dst_sel:DWORD dst_unused:UNUSED_PAD src0_sel:WORD_1 src1_sel:DWORD
	v_fma_f16 v51, v15, v30, -v51
	v_mul_f16_sdwa v30, v15, v30 dst_sel:DWORD dst_unused:UNUSED_PAD src0_sel:WORD_1 src1_sel:DWORD
	v_fma_f16 v15, v15, v24, v30
	v_lshrrev_b32_e32 v24, 16, v25
	;; [unrolled: 5-line block ×4, first 2 shown]
	v_mul_f16_sdwa v31, v18, v24 dst_sel:DWORD dst_unused:UNUSED_PAD src0_sel:WORD_1 src1_sel:DWORD
	v_fma_f16 v31, v18, v32, -v31
	v_mul_f16_sdwa v32, v18, v32 dst_sel:DWORD dst_unused:UNUSED_PAD src0_sel:WORD_1 src1_sel:DWORD
	v_fma_f16 v18, v18, v24, v32
	v_mul_f16_sdwa v24, v47, v19 dst_sel:DWORD dst_unused:UNUSED_PAD src0_sel:DWORD src1_sel:WORD_1
	v_fma_f16 v24, v28, v19, -v24
	v_mul_f16_sdwa v28, v28, v19 dst_sel:DWORD dst_unused:UNUSED_PAD src0_sel:DWORD src1_sel:WORD_1
	v_fma_f16 v19, v47, v19, v28
	v_mul_f16_sdwa v28, v49, v20 dst_sel:DWORD dst_unused:UNUSED_PAD src0_sel:DWORD src1_sel:WORD_1
	v_mul_f16_sdwa v32, v33, v20 dst_sel:DWORD dst_unused:UNUSED_PAD src0_sel:DWORD src1_sel:WORD_1
	v_fma_f16 v28, v33, v20, -v28
	v_fma_f16 v20, v49, v20, v32
	v_mul_f16_sdwa v32, v50, v21 dst_sel:DWORD dst_unused:UNUSED_PAD src0_sel:DWORD src1_sel:WORD_1
	v_fma_f16 v32, v29, v21, -v32
	v_mul_f16_sdwa v29, v29, v21 dst_sel:DWORD dst_unused:UNUSED_PAD src0_sel:DWORD src1_sel:WORD_1
	v_add_f16_e32 v33, v52, v51
	v_fma_f16 v21, v50, v21, v29
	v_add_f16_e32 v29, v22, v52
	v_fma_f16 v22, v33, -0.5, v22
	v_sub_f16_e32 v33, v14, v15
	v_fma_f16 v47, v33, s5, v22
	v_fma_f16 v22, v33, s4, v22
	v_add_f16_e32 v33, v44, v14
	v_add_f16_e32 v14, v14, v15
	;; [unrolled: 1-line block ×3, first 2 shown]
	v_fma_f16 v14, v14, -0.5, v44
	v_sub_f16_e32 v15, v52, v51
	v_add_f16_e32 v49, v30, v25
	v_fma_f16 v44, v15, s4, v14
	v_fma_f16 v14, v15, s5, v14
	v_add_f16_e32 v15, v23, v30
	v_fma_f16 v23, v49, -0.5, v23
	v_sub_f16_e32 v49, v16, v17
	v_fma_f16 v50, v49, s5, v23
	v_fma_f16 v23, v49, s4, v23
	v_add_f16_e32 v49, v45, v16
	v_add_f16_e32 v16, v16, v17
	v_add_f16_e32 v49, v49, v17
	v_fma_f16 v16, v16, -0.5, v45
	v_sub_f16_e32 v17, v30, v25
	v_add_f16_e32 v30, v31, v24
	v_add_f16_e32 v15, v15, v25
	v_fma_f16 v25, v17, s4, v16
	v_fma_f16 v16, v17, s5, v16
	v_add_f16_e32 v17, v26, v31
	v_fma_f16 v26, v30, -0.5, v26
	v_sub_f16_e32 v30, v18, v19
	v_fma_f16 v45, v30, s5, v26
	v_fma_f16 v26, v30, s4, v26
	v_add_f16_e32 v30, v46, v18
	v_add_f16_e32 v18, v18, v19
	v_add_f16_e32 v30, v30, v19
	v_fma_f16 v18, v18, -0.5, v46
	v_sub_f16_e32 v19, v31, v24
	v_add_f16_e32 v31, v28, v32
	;; [unrolled: 14-line block ×3, first 2 shown]
	v_add_f16_e32 v19, v19, v32
	v_fma_f16 v28, v21, s4, v20
	v_fma_f16 v20, v21, s5, v20
	v_mul_u32_u24_e32 v21, 0x264, v37
	v_lshlrev_b32_sdwa v32, v36, v39 dst_sel:DWORD dst_unused:UNUSED_PAD src0_sel:DWORD src1_sel:BYTE_0
	v_add3_u32 v21, 0, v21, v32
	v_pack_b32_f16 v29, v29, v33
	v_pack_b32_f16 v32, v47, v44
	;; [unrolled: 1-line block ×3, first 2 shown]
	ds_write2_b32 v21, v29, v32 offset1:51
	ds_write_b32 v21, v14 offset:408
	v_mul_u32_u24_e32 v14, 0x264, v38
	v_lshlrev_b32_e32 v21, 2, v34
	v_add3_u32 v14, 0, v14, v21
	v_pack_b32_f16 v15, v15, v49
	v_pack_b32_f16 v21, v50, v25
	ds_write2_b32 v14, v15, v21 offset1:51
	v_pack_b32_f16 v15, v23, v16
	ds_write_b32 v14, v15 offset:408
	v_mul_u32_u24_e32 v14, 0x264, v40
	v_lshlrev_b32_e32 v15, 2, v41
	v_add3_u32 v14, 0, v14, v15
	v_pack_b32_f16 v15, v17, v30
	v_pack_b32_f16 v16, v45, v24
	ds_write2_b32 v14, v15, v16 offset1:51
	v_pack_b32_f16 v15, v26, v18
	;; [unrolled: 8-line block ×3, first 2 shown]
	ds_write_b32 v14, v15 offset:408
	v_mul_u32_u24_sdwa v14, v35, s6 dst_sel:DWORD dst_unused:UNUSED_PAD src0_sel:WORD_0 src1_sel:DWORD
	v_lshrrev_b32_e32 v14, 21, v14
	v_mul_lo_u16_e32 v14, 0x99, v14
	v_sub_u16_e32 v14, v35, v14
	v_mov_b32_e32 v23, s13
	v_lshlrev_b32_e32 v24, 2, v14
	s_waitcnt lgkmcnt(0)
	s_barrier
	v_addc_co_u32_e32 v8, vcc, v23, v8, vcc
	global_load_dword v25, v24, s[12:13] offset:544
	global_load_dword v26, v[7:8], off offset:544
	v_add_u32_e32 v7, 0x2fd, v5
	v_mul_u32_u24_sdwa v8, v7, s6 dst_sel:DWORD dst_unused:UNUSED_PAD src0_sel:WORD_0 src1_sel:DWORD
	v_lshrrev_b32_e32 v8, 21, v8
	v_mul_lo_u16_e32 v8, 0x99, v8
	v_sub_u16_e32 v7, v7, v8
	v_lshlrev_b32_e32 v27, 2, v7
	v_add_u32_e32 v7, 0x264, v5
	v_mul_u32_u24_sdwa v8, v7, s6 dst_sel:DWORD dst_unused:UNUSED_PAD src0_sel:WORD_0 src1_sel:DWORD
	v_lshrrev_b32_e32 v8, 21, v8
	v_mul_lo_u16_e32 v8, 0x99, v8
	v_sub_u16_e32 v7, v7, v8
	v_lshlrev_b32_e32 v29, 2, v7
	v_mul_u32_u24_sdwa v7, v13, s6 dst_sel:DWORD dst_unused:UNUSED_PAD src0_sel:WORD_0 src1_sel:DWORD
	v_lshrrev_b32_e32 v7, 21, v7
	v_mul_lo_u16_e32 v7, 0x99, v7
	global_load_dword v28, v27, s[12:13] offset:544
	global_load_dword v30, v29, s[12:13] offset:544
	v_sub_u16_e32 v7, v13, v7
	v_lshlrev_b32_e32 v31, 2, v7
	global_load_dword v32, v31, s[12:13] offset:544
	ds_read2_b32 v[7:8], v0 offset1:153
	ds_read2_b32 v[13:14], v11 offset0:22 offset1:175
	ds_read2_b32 v[15:16], v12 offset0:50 offset1:203
	;; [unrolled: 1-line block ×5, first 2 shown]
	s_mov_b32 s6, 0xffff
	v_add_u32_e32 v24, 0, v24
	s_waitcnt vmcnt(0) lgkmcnt(0)
	s_barrier
	v_add_u32_e32 v29, 0, v29
	v_add_u32_e32 v27, 0, v27
	v_pk_mul_f16 v33, v26, v13 op_sel:[0,1]
	v_pk_fma_f16 v34, v26, v13, v33 op_sel:[0,0,1] op_sel_hi:[1,1,0] neg_lo:[0,0,1] neg_hi:[0,0,1]
	v_pk_fma_f16 v13, v26, v13, v33 op_sel:[0,0,1] op_sel_hi:[1,0,0]
	v_pk_mul_f16 v33, v26, v14 op_sel:[0,1]
	v_bfi_b32 v13, s6, v34, v13
	v_pk_fma_f16 v34, v26, v14, v33 op_sel:[0,0,1] op_sel_hi:[1,1,0] neg_lo:[0,0,1] neg_hi:[0,0,1]
	v_pk_fma_f16 v14, v26, v14, v33 op_sel:[0,0,1] op_sel_hi:[1,0,0]
	v_add_u32_e32 v26, 0, v31
	v_pk_add_f16 v13, v7, v13 neg_lo:[0,1] neg_hi:[0,1]
	v_bfi_b32 v14, s6, v34, v14
	v_pk_fma_f16 v7, v7, 2.0, v13 op_sel_hi:[1,0,1] neg_lo:[0,0,1] neg_hi:[0,0,1]
	v_pk_add_f16 v14, v8, v14 neg_lo:[0,1] neg_hi:[0,1]
	v_pk_fma_f16 v8, v8, 2.0, v14 op_sel_hi:[1,0,1] neg_lo:[0,0,1] neg_hi:[0,0,1]
	ds_write2_b32 v0, v7, v13 offset1:153
	ds_write2_b32 v12, v8, v14 offset0:50 offset1:203
	v_add_u32_e32 v7, 0x800, v24
	v_pk_mul_f16 v31, v22, v28 op_sel:[0,1]
	v_pk_fma_f16 v33, v22, v28, v31 op_sel:[0,0,1] op_sel_hi:[1,1,0] neg_lo:[0,0,1] neg_hi:[0,0,1]
	v_pk_fma_f16 v22, v22, v28, v31 op_sel:[0,0,1] op_sel_hi:[1,0,0]
	v_pk_mul_f16 v28, v30, v21 op_sel:[0,1]
	v_pk_fma_f16 v31, v30, v21, v28 op_sel:[0,0,1] op_sel_hi:[1,1,0] neg_lo:[0,0,1] neg_hi:[0,0,1]
	v_pk_fma_f16 v21, v30, v21, v28 op_sel:[0,0,1] op_sel_hi:[1,0,0]
	;; [unrolled: 3-line block ×3, first 2 shown]
	v_pk_mul_f16 v28, v25, v17 op_sel:[0,1]
	v_bfi_b32 v18, s6, v30, v18
	v_pk_fma_f16 v30, v25, v17, v28 op_sel:[0,0,1] op_sel_hi:[1,1,0] neg_lo:[0,0,1] neg_hi:[0,0,1]
	v_pk_fma_f16 v17, v25, v17, v28 op_sel:[0,0,1] op_sel_hi:[1,0,0]
	v_bfi_b32 v17, s6, v30, v17
	v_pk_add_f16 v17, v15, v17 neg_lo:[0,1] neg_hi:[0,1]
	v_bfi_b32 v21, s6, v31, v21
	v_pk_add_f16 v18, v16, v18 neg_lo:[0,1] neg_hi:[0,1]
	v_pk_fma_f16 v15, v15, 2.0, v17 op_sel_hi:[1,0,1] neg_lo:[0,0,1] neg_hi:[0,0,1]
	v_bfi_b32 v22, s6, v33, v22
	v_pk_add_f16 v21, v19, v21 neg_lo:[0,1] neg_hi:[0,1]
	v_pk_fma_f16 v16, v16, 2.0, v18 op_sel_hi:[1,0,1] neg_lo:[0,0,1] neg_hi:[0,0,1]
	ds_write2_b32 v7, v15, v17 offset0:100 offset1:253
	v_add_u32_e32 v7, 0xe00, v26
	v_pk_add_f16 v22, v20, v22 neg_lo:[0,1] neg_hi:[0,1]
	v_pk_fma_f16 v19, v19, 2.0, v21 op_sel_hi:[1,0,1] neg_lo:[0,0,1] neg_hi:[0,0,1]
	ds_write2_b32 v7, v16, v18 offset0:22 offset1:175
	v_add_u32_e32 v7, 0x1200, v29
	v_pk_fma_f16 v20, v20, 2.0, v22 op_sel_hi:[1,0,1] neg_lo:[0,0,1] neg_hi:[0,0,1]
	ds_write2_b32 v7, v19, v21 offset0:72 offset1:225
	v_add_u32_e32 v7, 0x1700, v27
	ds_write2_b32 v7, v20, v22 offset0:58 offset1:211
	v_mul_u32_u24_e32 v7, 5, v5
	v_lshlrev_b32_e32 v7, 2, v7
	s_waitcnt lgkmcnt(0)
	s_barrier
	global_load_dwordx4 v[13:16], v7, s[12:13] offset:1156
	global_load_dword v31, v7, s[12:13] offset:1172
	v_add_co_u32_e32 v8, vcc, s12, v7
	v_addc_co_u32_e32 v17, vcc, 0, v23, vcc
	s_movk_i32 s6, 0xbf4
	v_add_co_u32_e32 v7, vcc, s6, v8
	v_addc_co_u32_e32 v8, vcc, 0, v17, vcc
	global_load_dwordx4 v[17:20], v[7:8], off offset:1156
	global_load_dword v32, v[7:8], off offset:1172
	ds_read2_b32 v[7:8], v0 offset1:153
	ds_read2_b32 v[21:22], v12 offset0:50 offset1:203
	ds_read2_b32 v[23:24], v6 offset0:100 offset1:253
	;; [unrolled: 1-line block ×5, first 2 shown]
	s_waitcnt lgkmcnt(4)
	v_lshrrev_b32_e32 v40, 16, v21
	v_lshrrev_b32_e32 v35, 16, v22
	s_waitcnt lgkmcnt(3)
	v_lshrrev_b32_e32 v36, 16, v24
	s_waitcnt lgkmcnt(2)
	v_lshrrev_b32_e32 v37, 16, v26
	s_waitcnt lgkmcnt(1)
	v_lshrrev_b32_e32 v38, 16, v28
	s_waitcnt lgkmcnt(0)
	v_lshrrev_b32_e32 v39, 16, v30
	v_lshrrev_b32_e32 v33, 16, v7
	;; [unrolled: 1-line block ×3, first 2 shown]
	s_waitcnt vmcnt(0)
	s_barrier
	v_mul_f16_sdwa v41, v13, v40 dst_sel:DWORD dst_unused:UNUSED_PAD src0_sel:WORD_1 src1_sel:DWORD
	v_fma_f16 v41, v13, v21, -v41
	v_mul_f16_sdwa v21, v13, v21 dst_sel:DWORD dst_unused:UNUSED_PAD src0_sel:WORD_1 src1_sel:DWORD
	v_fma_f16 v13, v13, v40, v21
	v_lshrrev_b32_e32 v21, 16, v23
	v_mul_f16_sdwa v40, v14, v21 dst_sel:DWORD dst_unused:UNUSED_PAD src0_sel:WORD_1 src1_sel:DWORD
	v_fma_f16 v40, v14, v23, -v40
	v_mul_f16_sdwa v23, v14, v23 dst_sel:DWORD dst_unused:UNUSED_PAD src0_sel:WORD_1 src1_sel:DWORD
	v_fma_f16 v14, v14, v21, v23
	v_lshrrev_b32_e32 v21, 16, v25
	;; [unrolled: 5-line block ×4, first 2 shown]
	v_mul_f16_sdwa v27, v31, v21 dst_sel:DWORD dst_unused:UNUSED_PAD src0_sel:WORD_1 src1_sel:DWORD
	v_fma_f16 v27, v31, v29, -v27
	v_mul_f16_sdwa v29, v31, v29 dst_sel:DWORD dst_unused:UNUSED_PAD src0_sel:WORD_1 src1_sel:DWORD
	v_fma_f16 v21, v31, v21, v29
	v_mul_f16_sdwa v29, v35, v17 dst_sel:DWORD dst_unused:UNUSED_PAD src0_sel:DWORD src1_sel:WORD_1
	v_fma_f16 v29, v22, v17, -v29
	v_mul_f16_sdwa v22, v22, v17 dst_sel:DWORD dst_unused:UNUSED_PAD src0_sel:DWORD src1_sel:WORD_1
	v_fma_f16 v17, v35, v17, v22
	v_mul_f16_sdwa v22, v36, v18 dst_sel:DWORD dst_unused:UNUSED_PAD src0_sel:DWORD src1_sel:WORD_1
	v_fma_f16 v22, v24, v18, -v22
	v_mul_f16_sdwa v24, v24, v18 dst_sel:DWORD dst_unused:UNUSED_PAD src0_sel:DWORD src1_sel:WORD_1
	;; [unrolled: 4-line block ×5, first 2 shown]
	v_fma_f16 v30, v39, v32, v30
	v_add_f16_e32 v32, v40, v25
	v_add_f16_e32 v31, v7, v40
	v_fma_f16 v7, v32, -0.5, v7
	v_sub_f16_e32 v32, v14, v16
	v_fma_f16 v35, v32, s5, v7
	v_fma_f16 v7, v32, s4, v7
	v_add_f16_e32 v32, v33, v14
	v_add_f16_e32 v14, v14, v16
	v_fma_f16 v14, v14, -0.5, v33
	v_add_f16_e32 v33, v23, v27
	v_fma_f16 v33, v33, -0.5, v41
	v_sub_f16_e32 v36, v15, v21
	v_fma_f16 v37, v36, s5, v33
	v_fma_f16 v33, v36, s4, v33
	v_add_f16_e32 v36, v13, v15
	v_add_f16_e32 v15, v15, v21
	v_fma_f16 v13, v15, -0.5, v13
	v_sub_f16_e32 v15, v23, v27
	v_add_f16_e32 v32, v32, v16
	v_sub_f16_e32 v16, v40, v25
	v_add_f16_e32 v36, v36, v21
	v_fma_f16 v21, v15, s4, v13
	v_add_f16_e32 v31, v31, v25
	v_fma_f16 v25, v16, s4, v14
	v_fma_f16 v14, v16, s5, v14
	v_add_f16_e32 v16, v41, v23
	v_mul_f16_e32 v23, 0x3aee, v21
	v_fma_f16 v13, v15, s5, v13
	v_fma_f16 v23, v37, 0.5, v23
	v_mul_f16_e32 v38, -0.5, v33
	v_mul_f16_e32 v37, 0xbaee, v37
	v_fma_f16 v38, v13, s5, v38
	v_fma_f16 v21, v21, 0.5, v37
	v_mul_f16_e32 v13, -0.5, v13
	v_add_f16_e32 v37, v25, v21
	v_fma_f16 v13, v33, s4, v13
	v_sub_f16_e32 v21, v25, v21
	v_add_f16_e32 v25, v22, v26
	v_add_f16_e32 v16, v16, v27
	;; [unrolled: 1-line block ×3, first 2 shown]
	v_sub_f16_e32 v13, v14, v13
	v_add_f16_e32 v14, v8, v22
	v_fma_f16 v8, v25, -0.5, v8
	v_sub_f16_e32 v25, v18, v20
	v_add_f16_e32 v15, v31, v16
	v_add_f16_e32 v40, v32, v36
	v_sub_f16_e32 v16, v31, v16
	v_sub_f16_e32 v31, v32, v36
	v_fma_f16 v32, v25, s5, v8
	v_fma_f16 v8, v25, s4, v8
	v_add_f16_e32 v25, v34, v18
	v_add_f16_e32 v18, v18, v20
	;; [unrolled: 1-line block ×4, first 2 shown]
	v_fma_f16 v18, v18, -0.5, v34
	v_sub_f16_e32 v20, v22, v26
	v_add_f16_e32 v26, v24, v28
	v_fma_f16 v22, v20, s4, v18
	v_fma_f16 v18, v20, s5, v18
	v_add_f16_e32 v20, v29, v24
	v_fma_f16 v26, v26, -0.5, v29
	v_sub_f16_e32 v29, v19, v30
	v_fma_f16 v34, v29, s5, v26
	v_fma_f16 v26, v29, s4, v26
	v_add_f16_e32 v29, v17, v19
	v_add_f16_e32 v19, v19, v30
	v_fma_f16 v17, v19, -0.5, v17
	v_sub_f16_e32 v19, v24, v28
	v_fma_f16 v24, v19, s4, v17
	v_add_f16_e32 v20, v20, v28
	v_mul_f16_e32 v28, 0x3aee, v24
	v_add_f16_e32 v27, v35, v23
	v_sub_f16_e32 v23, v35, v23
	v_add_f16_e32 v29, v29, v30
	v_fma_f16 v17, v19, s5, v17
	v_fma_f16 v28, v34, 0.5, v28
	v_mul_f16_e32 v35, -0.5, v26
	v_mul_f16_e32 v34, 0xbaee, v34
	v_add_f16_e32 v39, v7, v38
	v_sub_f16_e32 v7, v7, v38
	v_add_f16_e32 v19, v14, v20
	v_fma_f16 v35, v17, s5, v35
	v_add_f16_e32 v38, v25, v29
	v_fma_f16 v24, v24, 0.5, v34
	v_mul_f16_e32 v17, -0.5, v17
	v_add_f16_e32 v30, v32, v28
	v_add_f16_e32 v34, v22, v24
	v_fma_f16 v17, v26, s4, v17
	v_pack_b32_f16 v15, v15, v40
	v_pack_b32_f16 v7, v7, v13
	;; [unrolled: 1-line block ×3, first 2 shown]
	v_add_f16_e32 v36, v8, v35
	v_add_f16_e32 v26, v18, v17
	v_sub_f16_e32 v17, v18, v17
	v_pack_b32_f16 v18, v27, v37
	ds_write2_b32 v0, v15, v13 offset1:153
	v_pack_b32_f16 v0, v30, v34
	v_sub_f16_e32 v14, v14, v20
	v_sub_f16_e32 v25, v25, v29
	;; [unrolled: 1-line block ×3, first 2 shown]
	v_pack_b32_f16 v24, v39, v33
	ds_write2_b32 v12, v18, v0 offset0:50 offset1:203
	v_pack_b32_f16 v0, v36, v26
	v_sub_f16_e32 v20, v32, v28
	v_pack_b32_f16 v16, v16, v31
	ds_write2_b32 v6, v24, v0 offset0:100 offset1:253
	v_pack_b32_f16 v0, v14, v25
	v_sub_f16_e32 v8, v8, v35
	v_pack_b32_f16 v21, v23, v21
	ds_write2_b32 v11, v16, v0 offset0:22 offset1:175
	v_pack_b32_f16 v0, v20, v22
	ds_write2_b32 v9, v21, v0 offset0:72 offset1:225
	;; [unrolled: 2-line block ×3, first 2 shown]
	s_waitcnt lgkmcnt(0)
	s_barrier
	s_and_saveexec_b64 s[4:5], s[0:1]
	s_cbranch_execz .LBB0_23
; %bb.22:
	v_mul_lo_u32 v0, s3, v3
	v_mul_lo_u32 v6, s2, v4
	v_mad_u64_u32 v[3:4], s[0:1], s2, v3, 0
	v_lshl_add_u32 v9, v5, 2, 0
	ds_read2_b32 v[7:8], v9 offset1:153
	v_add3_u32 v4, v4, v6, v0
	v_lshlrev_b64 v[3:4], 2, v[3:4]
	v_mov_b32_e32 v0, s11
	v_add_co_u32_e32 v3, vcc, s10, v3
	v_addc_co_u32_e32 v4, vcc, v0, v4, vcc
	v_lshlrev_b64 v[0:1], 2, v[1:2]
	v_mov_b32_e32 v6, 0
	v_add_co_u32_e32 v10, vcc, v3, v0
	v_addc_co_u32_e32 v4, vcc, v4, v1, vcc
	v_lshlrev_b64 v[0:1], 2, v[5:6]
	v_add_u32_e32 v2, 0x400, v9
	v_add_co_u32_e32 v0, vcc, v10, v0
	v_addc_co_u32_e32 v1, vcc, v4, v1, vcc
	s_waitcnt lgkmcnt(0)
	global_store_dword v[0:1], v7, off
	v_add_u32_e32 v0, 0x99, v5
	v_mov_b32_e32 v1, v6
	v_lshlrev_b64 v[0:1], 2, v[0:1]
	ds_read2_b32 v[2:3], v2 offset0:50 offset1:203
	v_add_co_u32_e32 v0, vcc, v10, v0
	v_addc_co_u32_e32 v1, vcc, v4, v1, vcc
	global_store_dword v[0:1], v8, off
	v_add_u32_e32 v0, 0x132, v5
	v_mov_b32_e32 v1, v6
	v_lshlrev_b64 v[0:1], 2, v[0:1]
	v_add_co_u32_e32 v0, vcc, v10, v0
	v_addc_co_u32_e32 v1, vcc, v4, v1, vcc
	s_waitcnt lgkmcnt(0)
	global_store_dword v[0:1], v2, off
	v_add_u32_e32 v0, 0x1cb, v5
	v_mov_b32_e32 v1, v6
	v_lshlrev_b64 v[0:1], 2, v[0:1]
	v_add_u32_e32 v2, 0x800, v9
	v_add_co_u32_e32 v0, vcc, v10, v0
	v_addc_co_u32_e32 v1, vcc, v4, v1, vcc
	global_store_dword v[0:1], v3, off
	v_add_u32_e32 v0, 0x264, v5
	v_mov_b32_e32 v1, v6
	ds_read2_b32 v[2:3], v2 offset0:100 offset1:253
	v_lshlrev_b64 v[0:1], 2, v[0:1]
	v_add_co_u32_e32 v0, vcc, v10, v0
	v_addc_co_u32_e32 v1, vcc, v4, v1, vcc
	s_waitcnt lgkmcnt(0)
	global_store_dword v[0:1], v2, off
	v_add_u32_e32 v0, 0x2fd, v5
	v_mov_b32_e32 v1, v6
	v_lshlrev_b64 v[0:1], 2, v[0:1]
	v_add_u32_e32 v2, 0xe00, v9
	v_add_co_u32_e32 v0, vcc, v10, v0
	v_addc_co_u32_e32 v1, vcc, v4, v1, vcc
	global_store_dword v[0:1], v3, off
	v_add_u32_e32 v0, 0x396, v5
	v_mov_b32_e32 v1, v6
	ds_read2_b32 v[2:3], v2 offset0:22 offset1:175
	;; [unrolled: 15-line block ×4, first 2 shown]
	v_lshlrev_b64 v[0:1], 2, v[0:1]
	v_add_u32_e32 v5, 0x693, v5
	v_add_co_u32_e32 v0, vcc, v10, v0
	v_addc_co_u32_e32 v1, vcc, v4, v1, vcc
	s_waitcnt lgkmcnt(0)
	global_store_dword v[0:1], v2, off
	v_lshlrev_b64 v[0:1], 2, v[5:6]
	v_add_co_u32_e32 v0, vcc, v10, v0
	v_addc_co_u32_e32 v1, vcc, v4, v1, vcc
	global_store_dword v[0:1], v3, off
.LBB0_23:
	s_endpgm
	.section	.rodata,"a",@progbits
	.p2align	6, 0x0
	.amdhsa_kernel fft_rtc_fwd_len1836_factors_17_3_3_2_6_wgs_153_tpt_153_halfLds_half_op_CI_CI_unitstride_sbrr_C2R_dirReg
		.amdhsa_group_segment_fixed_size 0
		.amdhsa_private_segment_fixed_size 0
		.amdhsa_kernarg_size 104
		.amdhsa_user_sgpr_count 6
		.amdhsa_user_sgpr_private_segment_buffer 1
		.amdhsa_user_sgpr_dispatch_ptr 0
		.amdhsa_user_sgpr_queue_ptr 0
		.amdhsa_user_sgpr_kernarg_segment_ptr 1
		.amdhsa_user_sgpr_dispatch_id 0
		.amdhsa_user_sgpr_flat_scratch_init 0
		.amdhsa_user_sgpr_private_segment_size 0
		.amdhsa_uses_dynamic_stack 0
		.amdhsa_system_sgpr_private_segment_wavefront_offset 0
		.amdhsa_system_sgpr_workgroup_id_x 1
		.amdhsa_system_sgpr_workgroup_id_y 0
		.amdhsa_system_sgpr_workgroup_id_z 0
		.amdhsa_system_sgpr_workgroup_info 0
		.amdhsa_system_vgpr_workitem_id 0
		.amdhsa_next_free_vgpr 153
		.amdhsa_next_free_sgpr 37
		.amdhsa_reserve_vcc 1
		.amdhsa_reserve_flat_scratch 0
		.amdhsa_float_round_mode_32 0
		.amdhsa_float_round_mode_16_64 0
		.amdhsa_float_denorm_mode_32 3
		.amdhsa_float_denorm_mode_16_64 3
		.amdhsa_dx10_clamp 1
		.amdhsa_ieee_mode 1
		.amdhsa_fp16_overflow 0
		.amdhsa_exception_fp_ieee_invalid_op 0
		.amdhsa_exception_fp_denorm_src 0
		.amdhsa_exception_fp_ieee_div_zero 0
		.amdhsa_exception_fp_ieee_overflow 0
		.amdhsa_exception_fp_ieee_underflow 0
		.amdhsa_exception_fp_ieee_inexact 0
		.amdhsa_exception_int_div_zero 0
	.end_amdhsa_kernel
	.text
.Lfunc_end0:
	.size	fft_rtc_fwd_len1836_factors_17_3_3_2_6_wgs_153_tpt_153_halfLds_half_op_CI_CI_unitstride_sbrr_C2R_dirReg, .Lfunc_end0-fft_rtc_fwd_len1836_factors_17_3_3_2_6_wgs_153_tpt_153_halfLds_half_op_CI_CI_unitstride_sbrr_C2R_dirReg
                                        ; -- End function
	.section	.AMDGPU.csdata,"",@progbits
; Kernel info:
; codeLenInByte = 12296
; NumSgprs: 41
; NumVgprs: 153
; ScratchSize: 0
; MemoryBound: 0
; FloatMode: 240
; IeeeMode: 1
; LDSByteSize: 0 bytes/workgroup (compile time only)
; SGPRBlocks: 5
; VGPRBlocks: 38
; NumSGPRsForWavesPerEU: 41
; NumVGPRsForWavesPerEU: 153
; Occupancy: 1
; WaveLimiterHint : 1
; COMPUTE_PGM_RSRC2:SCRATCH_EN: 0
; COMPUTE_PGM_RSRC2:USER_SGPR: 6
; COMPUTE_PGM_RSRC2:TRAP_HANDLER: 0
; COMPUTE_PGM_RSRC2:TGID_X_EN: 1
; COMPUTE_PGM_RSRC2:TGID_Y_EN: 0
; COMPUTE_PGM_RSRC2:TGID_Z_EN: 0
; COMPUTE_PGM_RSRC2:TIDIG_COMP_CNT: 0
	.type	__hip_cuid_3e1200175be21214,@object ; @__hip_cuid_3e1200175be21214
	.section	.bss,"aw",@nobits
	.globl	__hip_cuid_3e1200175be21214
__hip_cuid_3e1200175be21214:
	.byte	0                               ; 0x0
	.size	__hip_cuid_3e1200175be21214, 1

	.ident	"AMD clang version 19.0.0git (https://github.com/RadeonOpenCompute/llvm-project roc-6.4.0 25133 c7fe45cf4b819c5991fe208aaa96edf142730f1d)"
	.section	".note.GNU-stack","",@progbits
	.addrsig
	.addrsig_sym __hip_cuid_3e1200175be21214
	.amdgpu_metadata
---
amdhsa.kernels:
  - .args:
      - .actual_access:  read_only
        .address_space:  global
        .offset:         0
        .size:           8
        .value_kind:     global_buffer
      - .offset:         8
        .size:           8
        .value_kind:     by_value
      - .actual_access:  read_only
        .address_space:  global
        .offset:         16
        .size:           8
        .value_kind:     global_buffer
      - .actual_access:  read_only
        .address_space:  global
        .offset:         24
        .size:           8
        .value_kind:     global_buffer
      - .actual_access:  read_only
        .address_space:  global
        .offset:         32
        .size:           8
        .value_kind:     global_buffer
      - .offset:         40
        .size:           8
        .value_kind:     by_value
      - .actual_access:  read_only
        .address_space:  global
        .offset:         48
        .size:           8
        .value_kind:     global_buffer
      - .actual_access:  read_only
        .address_space:  global
        .offset:         56
        .size:           8
        .value_kind:     global_buffer
      - .offset:         64
        .size:           4
        .value_kind:     by_value
      - .actual_access:  read_only
        .address_space:  global
        .offset:         72
        .size:           8
        .value_kind:     global_buffer
      - .actual_access:  read_only
        .address_space:  global
        .offset:         80
        .size:           8
        .value_kind:     global_buffer
      - .actual_access:  read_only
        .address_space:  global
        .offset:         88
        .size:           8
        .value_kind:     global_buffer
      - .actual_access:  write_only
        .address_space:  global
        .offset:         96
        .size:           8
        .value_kind:     global_buffer
    .group_segment_fixed_size: 0
    .kernarg_segment_align: 8
    .kernarg_segment_size: 104
    .language:       OpenCL C
    .language_version:
      - 2
      - 0
    .max_flat_workgroup_size: 153
    .name:           fft_rtc_fwd_len1836_factors_17_3_3_2_6_wgs_153_tpt_153_halfLds_half_op_CI_CI_unitstride_sbrr_C2R_dirReg
    .private_segment_fixed_size: 0
    .sgpr_count:     41
    .sgpr_spill_count: 0
    .symbol:         fft_rtc_fwd_len1836_factors_17_3_3_2_6_wgs_153_tpt_153_halfLds_half_op_CI_CI_unitstride_sbrr_C2R_dirReg.kd
    .uniform_work_group_size: 1
    .uses_dynamic_stack: false
    .vgpr_count:     153
    .vgpr_spill_count: 0
    .wavefront_size: 64
amdhsa.target:   amdgcn-amd-amdhsa--gfx906
amdhsa.version:
  - 1
  - 2
...

	.end_amdgpu_metadata
